;; amdgpu-corpus repo=ROCm/rocFFT kind=compiled arch=gfx1030 opt=O3
	.text
	.amdgcn_target "amdgcn-amd-amdhsa--gfx1030"
	.amdhsa_code_object_version 6
	.protected	bluestein_single_fwd_len1734_dim1_half_op_CI_CI ; -- Begin function bluestein_single_fwd_len1734_dim1_half_op_CI_CI
	.globl	bluestein_single_fwd_len1734_dim1_half_op_CI_CI
	.p2align	8
	.type	bluestein_single_fwd_len1734_dim1_half_op_CI_CI,@function
bluestein_single_fwd_len1734_dim1_half_op_CI_CI: ; @bluestein_single_fwd_len1734_dim1_half_op_CI_CI
; %bb.0:
	s_load_dwordx4 s[12:15], s[4:5], 0x28
	v_mul_u32_u24_e32 v1, 0x283, v0
	v_mov_b32_e32 v29, 0
	s_mov_b32 s0, exec_lo
	v_lshrrev_b32_e32 v1, 16, v1
	v_add_nc_u32_e32 v28, s6, v1
	s_waitcnt lgkmcnt(0)
	v_cmpx_gt_u64_e64 s[12:13], v[28:29]
	s_cbranch_execz .LBB0_10
; %bb.1:
	s_clause 0x1
	s_load_dwordx4 s[8:11], s[4:5], 0x18
	s_load_dwordx4 s[0:3], s[4:5], 0x0
	v_mul_lo_u16 v1, 0x66, v1
	s_load_dwordx2 s[4:5], s[4:5], 0x38
	v_sub_nc_u16 v16, v0, v1
	v_and_b32_e32 v58, 0xffff, v16
	v_lshlrev_b32_e32 v43, 2, v58
	s_waitcnt lgkmcnt(0)
	s_load_dwordx4 s[16:19], s[8:9], 0x0
	s_clause 0x5
	global_load_dword v61, v43, s[0:1]
	global_load_dword v60, v43, s[0:1] offset:408
	global_load_dword v59, v43, s[0:1] offset:816
	;; [unrolled: 1-line block ×5, first 2 shown]
	v_add_co_u32 v63, s0, s0, v43
	v_add_co_ci_u32_e64 v64, null, s1, 0, s0
	v_add_nc_u32_e32 v23, 0x200, v43
	v_add_nc_u32_e32 v19, 0x400, v43
	;; [unrolled: 1-line block ×7, first 2 shown]
	s_waitcnt lgkmcnt(0)
	v_mad_u64_u32 v[0:1], null, s18, v28, 0
	v_mad_u64_u32 v[2:3], null, s16, v58, 0
	s_mul_i32 s0, s17, 0x198
	s_mul_hi_u32 s6, s16, 0x198
	s_mul_i32 s1, s16, 0x198
	s_add_i32 s0, s6, s0
	v_mad_u64_u32 v[4:5], null, s19, v28, v[1:2]
	v_mad_u64_u32 v[5:6], null, s17, v58, v[3:4]
	v_mov_b32_e32 v1, v4
	v_lshlrev_b64 v[0:1], 2, v[0:1]
	v_mov_b32_e32 v3, v5
	v_add_co_u32 v0, vcc_lo, s14, v0
	v_lshlrev_b64 v[2:3], 2, v[2:3]
	v_add_co_ci_u32_e32 v1, vcc_lo, s15, v1, vcc_lo
	v_add_co_u32 v0, vcc_lo, v0, v2
	v_add_co_ci_u32_e32 v1, vcc_lo, v1, v3, vcc_lo
	global_load_dword v8, v[0:1], off
	v_add_co_u32 v0, vcc_lo, v0, s1
	v_add_co_ci_u32_e32 v1, vcc_lo, s0, v1, vcc_lo
	v_add_co_u32 v2, vcc_lo, 0x800, v63
	v_add_co_ci_u32_e32 v3, vcc_lo, 0, v64, vcc_lo
	;; [unrolled: 2-line block ×3, first 2 shown]
	s_clause 0x1
	global_load_dword v9, v[0:1], off
	global_load_dword v10, v[4:5], off
	v_add_co_u32 v0, vcc_lo, v4, s1
	v_add_co_ci_u32_e32 v1, vcc_lo, s0, v5, vcc_lo
	v_add_co_u32 v4, vcc_lo, v0, s1
	v_add_co_ci_u32_e32 v5, vcc_lo, s0, v1, vcc_lo
	global_load_dword v11, v[0:1], off
	v_add_co_u32 v0, vcc_lo, v4, s1
	v_add_co_ci_u32_e32 v1, vcc_lo, s0, v5, vcc_lo
	v_add_co_u32 v6, vcc_lo, 0x1000, v63
	v_add_co_ci_u32_e32 v7, vcc_lo, 0, v64, vcc_lo
	global_load_dword v12, v[4:5], off
	global_load_dword v13, v[0:1], off
	v_add_co_u32 v0, vcc_lo, v0, s1
	v_add_co_ci_u32_e32 v1, vcc_lo, s0, v1, vcc_lo
	s_clause 0x1
	global_load_dword v55, v[2:3], off offset:400
	global_load_dword v53, v[2:3], off offset:808
	v_add_co_u32 v4, vcc_lo, v0, s1
	v_add_co_ci_u32_e32 v5, vcc_lo, s0, v1, vcc_lo
	global_load_dword v14, v[0:1], off
	v_add_co_u32 v0, vcc_lo, v4, s1
	v_add_co_ci_u32_e32 v1, vcc_lo, s0, v5, vcc_lo
	global_load_dword v15, v[4:5], off
	v_add_co_u32 v4, vcc_lo, v0, s1
	v_add_co_ci_u32_e32 v5, vcc_lo, s0, v1, vcc_lo
	s_clause 0x2
	global_load_dword v52, v[2:3], off offset:1216
	global_load_dword v51, v[2:3], off offset:1624
	;; [unrolled: 1-line block ×3, first 2 shown]
	global_load_dword v24, v[0:1], off
	global_load_dword v25, v[4:5], off
	v_add_co_u32 v0, vcc_lo, v4, s1
	v_add_co_ci_u32_e32 v1, vcc_lo, s0, v5, vcc_lo
	s_clause 0x3
	global_load_dword v49, v[6:7], off offset:392
	global_load_dword v48, v[6:7], off offset:800
	;; [unrolled: 1-line block ×4, first 2 shown]
	v_add_co_u32 v2, vcc_lo, v0, s1
	v_add_co_ci_u32_e32 v3, vcc_lo, s0, v1, vcc_lo
	global_load_dword v4, v[0:1], off
	v_add_co_u32 v0, vcc_lo, v2, s1
	v_add_co_ci_u32_e32 v1, vcc_lo, s0, v3, vcc_lo
	global_load_dword v5, v[2:3], off
	;; [unrolled: 3-line block ×5, first 2 shown]
	v_add_co_u32 v0, vcc_lo, v2, s1
	v_add_co_ci_u32_e32 v1, vcc_lo, s0, v3, vcc_lo
	v_add_co_u32 v29, vcc_lo, 0x1800, v63
	global_load_dword v2, v[2:3], off
	v_add_co_ci_u32_e32 v30, vcc_lo, 0, v64, vcc_lo
	global_load_dword v0, v[0:1], off
	s_clause 0x1
	global_load_dword v45, v[6:7], off offset:2024
	global_load_dword v44, v[29:30], off offset:384
	s_load_dwordx4 s[8:11], s[10:11], 0x0
	v_cmp_gt_u16_e32 vcc_lo, 0x55, v16
	s_waitcnt vmcnt(27)
	v_lshrrev_b32_e32 v1, 16, v8
	v_mul_f16_sdwa v3, v61, v8 dst_sel:DWORD dst_unused:UNUSED_PAD src0_sel:WORD_1 src1_sel:DWORD
	v_mul_f16_sdwa v6, v61, v1 dst_sel:DWORD dst_unused:UNUSED_PAD src0_sel:WORD_1 src1_sel:DWORD
	v_fma_f16 v1, v61, v1, -v3
	v_fmac_f16_e32 v6, v61, v8
	s_waitcnt vmcnt(26)
	v_lshrrev_b32_e32 v7, 16, v9
	v_mul_f16_sdwa v32, v60, v9 dst_sel:DWORD dst_unused:UNUSED_PAD src0_sel:WORD_1 src1_sel:DWORD
	v_pack_b32_f16 v1, v6, v1
	s_waitcnt vmcnt(25)
	v_lshrrev_b32_e32 v8, 16, v10
	v_mul_f16_sdwa v3, v60, v7 dst_sel:DWORD dst_unused:UNUSED_PAD src0_sel:WORD_1 src1_sel:DWORD
	v_fma_f16 v7, v60, v7, -v32
	v_mul_f16_sdwa v32, v59, v10 dst_sel:DWORD dst_unused:UNUSED_PAD src0_sel:WORD_1 src1_sel:DWORD
	v_mul_f16_sdwa v6, v59, v8 dst_sel:DWORD dst_unused:UNUSED_PAD src0_sel:WORD_1 src1_sel:DWORD
	v_fmac_f16_e32 v3, v60, v9
	v_fma_f16 v8, v59, v8, -v32
	s_waitcnt vmcnt(24)
	v_lshrrev_b32_e32 v9, 16, v11
	v_mul_f16_sdwa v33, v57, v11 dst_sel:DWORD dst_unused:UNUSED_PAD src0_sel:WORD_1 src1_sel:DWORD
	v_pack_b32_f16 v3, v3, v7
	v_fmac_f16_e32 v6, v59, v10
	v_mul_f16_sdwa v7, v57, v9 dst_sel:DWORD dst_unused:UNUSED_PAD src0_sel:WORD_1 src1_sel:DWORD
	v_fma_f16 v9, v57, v9, -v33
	ds_write2_b32 v43, v1, v3 offset1:102
	s_waitcnt vmcnt(23)
	v_lshrrev_b32_e32 v10, 16, v12
	v_mul_f16_sdwa v32, v56, v12 dst_sel:DWORD dst_unused:UNUSED_PAD src0_sel:WORD_1 src1_sel:DWORD
	v_pack_b32_f16 v1, v6, v8
	v_fmac_f16_e32 v7, v57, v11
	s_waitcnt vmcnt(22)
	v_lshrrev_b32_e32 v6, 16, v13
	v_mul_f16_sdwa v3, v56, v10 dst_sel:DWORD dst_unused:UNUSED_PAD src0_sel:WORD_1 src1_sel:DWORD
	v_mul_f16_sdwa v8, v54, v13 dst_sel:DWORD dst_unused:UNUSED_PAD src0_sel:WORD_1 src1_sel:DWORD
	v_fma_f16 v10, v56, v10, -v32
	v_pack_b32_f16 v7, v7, v9
	v_mul_f16_sdwa v9, v54, v6 dst_sel:DWORD dst_unused:UNUSED_PAD src0_sel:WORD_1 src1_sel:DWORD
	v_fmac_f16_e32 v3, v56, v12
	v_fma_f16 v6, v54, v6, -v8
	s_waitcnt vmcnt(19)
	v_lshrrev_b32_e32 v8, 16, v14
	v_mul_f16_sdwa v11, v55, v14 dst_sel:DWORD dst_unused:UNUSED_PAD src0_sel:WORD_1 src1_sel:DWORD
	ds_write2_b32 v23, v1, v7 offset0:76 offset1:178
	v_pack_b32_f16 v1, v3, v10
	v_fmac_f16_e32 v9, v54, v13
	v_mul_f16_sdwa v3, v55, v8 dst_sel:DWORD dst_unused:UNUSED_PAD src0_sel:WORD_1 src1_sel:DWORD
	s_waitcnt vmcnt(18)
	v_lshrrev_b32_e32 v7, 16, v15
	v_mul_f16_sdwa v10, v53, v15 dst_sel:DWORD dst_unused:UNUSED_PAD src0_sel:WORD_1 src1_sel:DWORD
	v_fma_f16 v8, v55, v8, -v11
	v_pack_b32_f16 v6, v9, v6
	v_fmac_f16_e32 v3, v55, v14
	v_mul_f16_sdwa v9, v53, v7 dst_sel:DWORD dst_unused:UNUSED_PAD src0_sel:WORD_1 src1_sel:DWORD
	v_fma_f16 v7, v53, v7, -v10
	s_waitcnt vmcnt(14)
	v_lshrrev_b32_e32 v10, 16, v24
	v_mul_f16_sdwa v11, v52, v24 dst_sel:DWORD dst_unused:UNUSED_PAD src0_sel:WORD_1 src1_sel:DWORD
	ds_write2_b32 v19, v1, v6 offset0:152 offset1:254
	v_pack_b32_f16 v1, v3, v8
	v_fmac_f16_e32 v9, v53, v15
	v_mul_f16_sdwa v3, v52, v10 dst_sel:DWORD dst_unused:UNUSED_PAD src0_sel:WORD_1 src1_sel:DWORD
	s_waitcnt vmcnt(13)
	v_lshrrev_b32_e32 v6, 16, v25
	v_mul_f16_sdwa v8, v51, v25 dst_sel:DWORD dst_unused:UNUSED_PAD src0_sel:WORD_1 src1_sel:DWORD
	v_fma_f16 v10, v52, v10, -v11
	v_pack_b32_f16 v7, v9, v7
	v_fmac_f16_e32 v3, v52, v24
	v_mul_f16_sdwa v9, v51, v6 dst_sel:DWORD dst_unused:UNUSED_PAD src0_sel:WORD_1 src1_sel:DWORD
	;; [unrolled: 15-line block ×3, first 2 shown]
	v_fma_f16 v7, v49, v7, -v10
	s_waitcnt vmcnt(6)
	v_lshrrev_b32_e32 v9, 16, v26
	v_mul_f16_sdwa v10, v48, v26 dst_sel:DWORD dst_unused:UNUSED_PAD src0_sel:WORD_1 src1_sel:DWORD
	v_pack_b32_f16 v3, v3, v8
	v_fmac_f16_e32 v4, v49, v5
	s_waitcnt vmcnt(5)
	v_lshrrev_b32_e32 v5, 16, v27
	v_mul_f16_sdwa v8, v48, v9 dst_sel:DWORD dst_unused:UNUSED_PAD src0_sel:WORD_1 src1_sel:DWORD
	v_fma_f16 v9, v48, v9, -v10
	v_mul_f16_sdwa v10, v47, v27 dst_sel:DWORD dst_unused:UNUSED_PAD src0_sel:WORD_1 src1_sel:DWORD
	v_pack_b32_f16 v4, v4, v7
	v_mul_f16_sdwa v7, v47, v5 dst_sel:DWORD dst_unused:UNUSED_PAD src0_sel:WORD_1 src1_sel:DWORD
	s_waitcnt vmcnt(4)
	v_lshrrev_b32_e32 v11, 16, v31
	s_waitcnt vmcnt(3)
	v_lshrrev_b32_e32 v12, 16, v2
	v_fma_f16 v5, v47, v5, -v10
	v_mul_f16_sdwa v10, v46, v31 dst_sel:DWORD dst_unused:UNUSED_PAD src0_sel:WORD_1 src1_sel:DWORD
	s_waitcnt vmcnt(2)
	v_lshrrev_b32_e32 v14, 16, v0
	v_mul_f16_sdwa v13, v46, v11 dst_sel:DWORD dst_unused:UNUSED_PAD src0_sel:WORD_1 src1_sel:DWORD
	s_waitcnt vmcnt(1)
	v_mul_f16_sdwa v15, v45, v12 dst_sel:DWORD dst_unused:UNUSED_PAD src0_sel:WORD_1 src1_sel:DWORD
	s_waitcnt vmcnt(0)
	v_mul_f16_sdwa v24, v44, v0 dst_sel:DWORD dst_unused:UNUSED_PAD src0_sel:WORD_1 src1_sel:DWORD
	v_fma_f16 v10, v46, v11, -v10
	v_mul_f16_sdwa v11, v45, v2 dst_sel:DWORD dst_unused:UNUSED_PAD src0_sel:WORD_1 src1_sel:DWORD
	v_mul_f16_sdwa v25, v44, v14 dst_sel:DWORD dst_unused:UNUSED_PAD src0_sel:WORD_1 src1_sel:DWORD
	v_fmac_f16_e32 v8, v48, v26
	v_fmac_f16_e32 v7, v47, v27
	;; [unrolled: 1-line block ×3, first 2 shown]
	v_fma_f16 v11, v45, v12, -v11
	v_fmac_f16_e32 v15, v45, v2
	v_fma_f16 v2, v44, v14, -v24
	v_fmac_f16_e32 v25, v44, v0
	v_pack_b32_f16 v0, v8, v9
	v_pack_b32_f16 v5, v7, v5
	v_pack_b32_f16 v7, v13, v10
	v_pack_b32_f16 v8, v15, v11
	v_pack_b32_f16 v2, v25, v2
	ds_write2_b32 v18, v1, v6 offset0:48 offset1:150
	ds_write2_b32 v22, v3, v4 offset0:124 offset1:226
	;; [unrolled: 1-line block ×4, first 2 shown]
	ds_write_b32 v43, v2 offset:6528
	s_waitcnt lgkmcnt(0)
	s_barrier
	buffer_gl0_inv
	ds_read2_b32 v[0:1], v43 offset1:102
	ds_read_b32 v2, v43 offset:6528
	ds_read2_b32 v[41:42], v17 offset0:100 offset1:202
	ds_read2_b32 v[65:66], v22 offset0:124 offset1:226
	ds_read2_b32 v[67:68], v23 offset0:76 offset1:178
	ds_read2_b32 v[69:70], v19 offset0:152 offset1:254
	ds_read2_b32 v[71:72], v21 offset0:72 offset1:174
	ds_read2_b32 v[73:74], v18 offset0:48 offset1:150
	ds_read2_b32 v[75:76], v20 offset0:148 offset1:250
	v_mov_b32_e32 v3, 2
	v_mul_lo_u16 v4, v16, 17
	s_waitcnt lgkmcnt(0)
	s_barrier
	buffer_gl0_inv
	v_lshlrev_b32_sdwa v62, v3, v4 dst_sel:DWORD dst_unused:UNUSED_PAD src0_sel:DWORD src1_sel:WORD_0
	v_add_f16_e32 v24, v0, v1
	v_sub_f16_sdwa v10, v1, v2 dst_sel:DWORD dst_unused:UNUSED_PAD src0_sel:WORD_1 src1_sel:WORD_1
	v_sub_f16_e32 v11, v1, v2
	v_add_f16_sdwa v25, v0, v1 dst_sel:DWORD dst_unused:UNUSED_PAD src0_sel:WORD_1 src1_sel:WORD_1
	v_add_f16_e32 v77, v2, v1
	v_add_f16_sdwa v78, v2, v1 dst_sel:DWORD dst_unused:UNUSED_PAD src0_sel:WORD_1 src1_sel:WORD_1
	v_add_f16_e32 v79, v76, v67
	v_add_f16_sdwa v80, v76, v67 dst_sel:DWORD dst_unused:UNUSED_PAD src0_sel:WORD_1 src1_sel:WORD_1
	v_sub_f16_e32 v81, v67, v76
	v_sub_f16_sdwa v82, v67, v76 dst_sel:DWORD dst_unused:UNUSED_PAD src0_sel:WORD_1 src1_sel:WORD_1
	v_mul_f16_e32 v87, 0xb5c8, v10
	v_mul_f16_e32 v88, 0xb5c8, v11
	;; [unrolled: 1-line block ×16, first 2 shown]
	v_add_f16_e32 v103, v24, v67
	v_add_f16_sdwa v67, v25, v67 dst_sel:DWORD dst_unused:UNUSED_PAD src0_sel:DWORD src1_sel:WORD_1
	v_fma_f16 v134, v77, 0x3b76, -v87
	v_fmac_f16_e32 v87, 0x3b76, v77
	v_fma_f16 v135, v77, 0x39e9, -v89
	v_fmac_f16_e32 v89, 0x39e9, v77
	;; [unrolled: 2-line block ×8, first 2 shown]
	v_fmamk_f16 v77, v78, 0x3b76, v88
	v_fma_f16 v88, v78, 0x3b76, -v88
	v_fmamk_f16 v142, v78, 0x39e9, v90
	v_fma_f16 v90, v78, 0x39e9, -v90
	v_fmamk_f16 v143, v78, 0x3722, v92
	v_fma_f16 v92, v78, 0x3722, -v92
	v_fmamk_f16 v144, v78, 0x2de8, v94
	v_fma_f16 v94, v78, 0x2de8, -v94
	v_fmamk_f16 v145, v78, 0xb461, v96
	v_fma_f16 v96, v78, 0xb461, -v96
	v_fmamk_f16 v146, v78, 0xb8d2, v98
	v_fma_f16 v98, v78, 0xb8d2, -v98
	v_fmamk_f16 v147, v78, 0xbacd, v101
	v_fma_f16 v101, v78, 0xbacd, -v101
	v_fmamk_f16 v148, v78, 0xbbdd, v102
	v_fma_f16 v78, v78, 0xbbdd, -v102
	v_add_f16_e32 v102, v103, v68
	v_add_f16_sdwa v67, v67, v68 dst_sel:DWORD dst_unused:UNUSED_PAD src0_sel:DWORD src1_sel:WORD_1
	v_sub_f16_e32 v85, v68, v75
	v_sub_f16_sdwa v86, v68, v75 dst_sel:DWORD dst_unused:UNUSED_PAD src0_sel:WORD_1 src1_sel:WORD_1
	v_mul_f16_e32 v104, 0xb964, v82
	v_mul_f16_e32 v105, 0xb964, v81
	v_add_f16_e32 v102, v102, v69
	v_add_f16_sdwa v67, v67, v69 dst_sel:DWORD dst_unused:UNUSED_PAD src0_sel:DWORD src1_sel:WORD_1
	v_add_f16_e32 v35, v72, v69
	v_add_f16_sdwa v36, v72, v69 dst_sel:DWORD dst_unused:UNUSED_PAD src0_sel:WORD_1 src1_sel:WORD_1
	v_sub_f16_e32 v37, v69, v72
	v_sub_f16_sdwa v38, v69, v72 dst_sel:DWORD dst_unused:UNUSED_PAD src0_sel:WORD_1 src1_sel:WORD_1
	v_add_f16_e32 v83, v75, v68
	v_add_f16_sdwa v84, v75, v68 dst_sel:DWORD dst_unused:UNUSED_PAD src0_sel:WORD_1 src1_sel:WORD_1
	v_mul_f16_e32 v106, 0xbb29, v86
	v_mul_f16_e32 v107, 0xbb29, v85
	v_fma_f16 v68, v79, 0x39e9, -v104
	v_fmamk_f16 v103, v80, 0x39e9, v105
	v_add_f16_e32 v134, v0, v134
	v_add_f16_sdwa v77, v0, v77 dst_sel:DWORD dst_unused:UNUSED_PAD src0_sel:WORD_1 src1_sel:DWORD
	v_add_f16_e32 v87, v0, v87
	v_add_f16_sdwa v88, v0, v88 dst_sel:DWORD dst_unused:UNUSED_PAD src0_sel:WORD_1 src1_sel:DWORD
	;; [unrolled: 2-line block ×16, first 2 shown]
	v_add_f16_e32 v78, v102, v70
	v_add_f16_sdwa v67, v67, v70 dst_sel:DWORD dst_unused:UNUSED_PAD src0_sel:DWORD src1_sel:WORD_1
	v_add_f16_e32 v12, v66, v41
	v_add_f16_sdwa v13, v66, v41 dst_sel:DWORD dst_unused:UNUSED_PAD src0_sel:WORD_1 src1_sel:WORD_1
	v_sub_f16_e32 v14, v41, v66
	v_sub_f16_sdwa v15, v41, v66 dst_sel:DWORD dst_unused:UNUSED_PAD src0_sel:WORD_1 src1_sel:WORD_1
	v_add_f16_e32 v26, v71, v70
	v_add_f16_sdwa v27, v71, v70 dst_sel:DWORD dst_unused:UNUSED_PAD src0_sel:WORD_1 src1_sel:WORD_1
	v_sub_f16_e32 v31, v70, v71
	v_sub_f16_sdwa v32, v70, v71 dst_sel:DWORD dst_unused:UNUSED_PAD src0_sel:WORD_1 src1_sel:WORD_1
	v_fma_f16 v149, v83, 0x3722, -v106
	v_fmamk_f16 v150, v84, 0x3722, v107
	v_add_f16_e32 v68, v68, v134
	v_add_f16_e32 v70, v103, v77
	;; [unrolled: 1-line block ×3, first 2 shown]
	v_add_f16_sdwa v41, v67, v41 dst_sel:DWORD dst_unused:UNUSED_PAD src0_sel:DWORD src1_sel:WORD_1
	v_mul_f16_e32 v108, 0xbbf7, v38
	v_add_f16_e32 v67, v149, v68
	v_add_f16_e32 v68, v150, v70
	;; [unrolled: 1-line block ×3, first 2 shown]
	v_add_f16_sdwa v41, v41, v42 dst_sel:DWORD dst_unused:UNUSED_PAD src0_sel:DWORD src1_sel:WORD_1
	v_mul_f16_e32 v109, 0xbbf7, v37
	v_mul_f16_e32 v39, 0xbbb2, v32
	;; [unrolled: 1-line block ×3, first 2 shown]
	v_add_f16_e32 v70, v70, v73
	v_add_f16_sdwa v41, v41, v73 dst_sel:DWORD dst_unused:UNUSED_PAD src0_sel:DWORD src1_sel:WORD_1
	v_fma_f16 v151, v35, 0x2de8, -v108
	v_fmamk_f16 v152, v36, 0x2de8, v109
	v_sub_f16_e32 v8, v42, v65
	v_add_f16_e32 v70, v70, v74
	v_add_f16_sdwa v41, v41, v74 dst_sel:DWORD dst_unused:UNUSED_PAD src0_sel:DWORD src1_sel:WORD_1
	v_sub_f16_sdwa v9, v42, v65 dst_sel:DWORD dst_unused:UNUSED_PAD src0_sel:WORD_1 src1_sel:WORD_1
	v_mul_f16_e32 v33, 0xba62, v15
	v_mul_f16_e32 v34, 0xba62, v14
	v_add_f16_e32 v70, v70, v65
	v_add_f16_sdwa v41, v41, v65 dst_sel:DWORD dst_unused:UNUSED_PAD src0_sel:DWORD src1_sel:WORD_1
	v_fma_f16 v153, v26, 0xb461, -v39
	v_fmamk_f16 v154, v27, 0xb461, v40
	v_add_f16_e32 v67, v151, v67
	v_add_f16_e32 v70, v70, v66
	v_add_f16_sdwa v41, v41, v66 dst_sel:DWORD dst_unused:UNUSED_PAD src0_sel:DWORD src1_sel:WORD_1
	v_add_f16_e32 v68, v152, v68
	v_add_f16_e32 v6, v65, v42
	v_add_f16_sdwa v7, v65, v42 dst_sel:DWORD dst_unused:UNUSED_PAD src0_sel:WORD_1 src1_sel:WORD_1
	v_add_f16_e32 v70, v70, v71
	v_add_f16_sdwa v41, v41, v71 dst_sel:DWORD dst_unused:UNUSED_PAD src0_sel:DWORD src1_sel:WORD_1
	v_sub_f16_e32 v4, v73, v74
	v_sub_f16_sdwa v5, v73, v74 dst_sel:DWORD dst_unused:UNUSED_PAD src0_sel:WORD_1 src1_sel:WORD_1
	v_mul_f16_e32 v24, 0xb836, v9
	v_mul_f16_e32 v25, 0xb836, v8
	;; [unrolled: 1-line block ×3, first 2 shown]
	v_fma_f16 v155, v12, 0xb8d2, -v33
	v_fmamk_f16 v156, v13, 0xb8d2, v34
	v_add_f16_e32 v67, v153, v67
	v_add_f16_e32 v68, v154, v68
	;; [unrolled: 1-line block ×3, first 2 shown]
	v_add_f16_sdwa v41, v41, v72 dst_sel:DWORD dst_unused:UNUSED_PAD src0_sel:DWORD src1_sel:WORD_1
	v_add_f16_e32 v1, v74, v73
	v_add_f16_sdwa v3, v74, v73 dst_sel:DWORD dst_unused:UNUSED_PAD src0_sel:WORD_1 src1_sel:WORD_1
	v_mul_f16_e32 v10, 0xb1e1, v5
	v_mul_f16_e32 v11, 0xb1e1, v4
	;; [unrolled: 1-line block ×10, first 2 shown]
	v_fma_f16 v157, v6, 0xbacd, -v24
	v_fmamk_f16 v158, v7, 0xbacd, v25
	v_fmamk_f16 v169, v80, 0xbbdd, v118
	v_fma_f16 v118, v80, 0xbbdd, -v118
	v_add_f16_e32 v67, v155, v67
	v_add_f16_e32 v68, v156, v68
	;; [unrolled: 1-line block ×3, first 2 shown]
	v_add_f16_sdwa v41, v41, v75 dst_sel:DWORD dst_unused:UNUSED_PAD src0_sel:DWORD src1_sel:WORD_1
	v_mul_f16_e32 v116, 0xbbf7, v81
	v_mul_f16_e32 v117, 0xba62, v81
	;; [unrolled: 1-line block ×13, first 2 shown]
	v_fma_f16 v159, v1, 0xbbdd, -v10
	v_fmamk_f16 v160, v3, 0xbbdd, v11
	v_fmac_f16_e32 v104, 0x39e9, v79
	v_fma_f16 v161, v79, 0x2de8, -v110
	v_fmac_f16_e32 v110, 0x2de8, v79
	v_fma_f16 v162, v79, 0xb8d2, -v111
	;; [unrolled: 2-line block ×8, first 2 shown]
	v_fmamk_f16 v178, v84, 0xb461, v127
	v_fma_f16 v127, v84, 0xb461, -v127
	v_add_f16_e32 v94, v118, v94
	v_add_f16_e32 v67, v157, v67
	;; [unrolled: 1-line block ×4, first 2 shown]
	v_add_f16_sdwa v41, v41, v76 dst_sel:DWORD dst_unused:UNUSED_PAD src0_sel:DWORD src1_sel:WORD_1
	v_mul_f16_e32 v123, 0xba62, v85
	v_mul_f16_e32 v125, 0x31e1, v85
	v_mul_f16_e32 v129, 0x3964, v85
	v_mul_f16_e32 v131, 0xb5c8, v85
	v_mul_f16_e32 v133, 0xbbf7, v85
	v_mul_f16_e32 v85, 0xb836, v85
	v_fmamk_f16 v105, v80, 0x2de8, v116
	v_fma_f16 v116, v80, 0x2de8, -v116
	v_fmamk_f16 v168, v80, 0xb8d2, v117
	v_fma_f16 v117, v80, 0xb8d2, -v117
	;; [unrolled: 2-line block ×6, first 2 shown]
	v_fmac_f16_e32 v106, 0x3722, v83
	v_fma_f16 v81, v84, 0x3722, -v107
	v_fma_f16 v179, v83, 0x39e9, -v128
	v_fmac_f16_e32 v128, 0x39e9, v83
	v_add_f16_e32 v77, v104, v87
	v_add_f16_e32 v79, v79, v88
	;; [unrolled: 1-line block ×8, first 2 shown]
	v_add_f16_sdwa v2, v41, v2 dst_sel:DWORD dst_unused:UNUSED_PAD src0_sel:DWORD src1_sel:WORD_1
	v_fma_f16 v94, v83, 0xbacd, -v86
	v_fmac_f16_e32 v86, 0xbacd, v83
	v_fma_f16 v107, v83, 0xb8d2, -v122
	v_fmac_f16_e32 v122, 0xb8d2, v83
	;; [unrolled: 2-line block ×6, first 2 shown]
	v_add_f16_e32 v87, v161, v135
	v_add_f16_e32 v99, v115, v99
	;; [unrolled: 1-line block ×7, first 2 shown]
	v_pack_b32_f16 v67, v67, v68
	v_pack_b32_f16 v2, v70, v2
	v_fmamk_f16 v95, v84, 0xbacd, v85
	v_fma_f16 v83, v84, 0xbacd, -v85
	v_mul_f16_e32 v85, 0xb1e1, v38
	v_add_f16_e32 v82, v86, v82
	v_fma_f16 v86, v36, 0x2de8, -v109
	v_fmamk_f16 v174, v84, 0xb8d2, v123
	v_fma_f16 v123, v84, 0xb8d2, -v123
	v_fmamk_f16 v176, v84, 0xbbdd, v125
	;; [unrolled: 2-line block ×5, first 2 shown]
	v_add_f16_e32 v88, v105, v142
	v_add_f16_e32 v89, v110, v89
	;; [unrolled: 1-line block ×7, first 2 shown]
	ds_write2_b32 v62, v2, v67 offset1:1
	v_fma_f16 v67, v84, 0x2de8, -v133
	v_add_f16_e32 v84, v94, v115
	v_add_f16_e32 v0, v83, v0
	v_fma_f16 v83, v35, 0xbbdd, -v85
	v_mul_f16_e32 v94, 0xb1e1, v37
	v_add_f16_e32 v77, v86, v77
	v_mul_f16_e32 v86, 0x3bb2, v38
	v_add_f16_e32 v103, v168, v143
	v_add_f16_e32 v91, v111, v91
	;; [unrolled: 1-line block ×10, first 2 shown]
	v_fmamk_f16 v83, v36, 0xbbdd, v94
	v_fmac_f16_e32 v85, 0xbbdd, v35
	v_fma_f16 v94, v36, 0xbbdd, -v94
	v_fma_f16 v95, v35, 0xb461, -v86
	v_mul_f16_e32 v96, 0x3bb2, v37
	v_add_f16_e32 v104, v163, v137
	v_add_f16_e32 v105, v169, v144
	;; [unrolled: 1-line block ×10, first 2 shown]
	v_fmamk_f16 v83, v36, 0xb461, v96
	v_mul_f16_e32 v85, 0x35c8, v38
	v_fmac_f16_e32 v86, 0xb461, v35
	v_fma_f16 v94, v36, 0xb461, -v96
	v_mul_f16_e32 v95, 0x35c8, v37
	v_add_f16_e32 v110, v164, v138
	v_add_f16_e32 v88, v177, v104
	;; [unrolled: 1-line block ×5, first 2 shown]
	v_fma_f16 v83, v35, 0x3b76, -v85
	v_add_f16_e32 v86, v86, v87
	v_add_f16_e32 v65, v94, v65
	v_fmamk_f16 v87, v36, 0x3b76, v95
	v_mul_f16_e32 v94, 0xbb29, v38
	v_fmac_f16_e32 v85, 0x3b76, v35
	v_add_f16_e32 v111, v170, v145
	v_add_f16_e32 v112, v165, v139
	v_add_f16_e32 v72, v179, v110
	v_add_f16_e32 v83, v83, v88
	v_fma_f16 v88, v36, 0x3b76, -v95
	v_add_f16_e32 v87, v87, v89
	v_fma_f16 v89, v35, 0x3722, -v94
	v_mul_f16_e32 v95, 0xbb29, v37
	v_add_f16_e32 v66, v85, v66
	v_mul_f16_e32 v85, 0xb836, v38
	v_add_f16_e32 v113, v171, v146
	v_add_f16_e32 v97, v114, v97
	;; [unrolled: 1-line block ×6, first 2 shown]
	v_fmamk_f16 v88, v36, 0x3722, v95
	v_fma_f16 v89, v36, 0x3722, -v95
	v_fma_f16 v95, v35, 0xbacd, -v85
	v_mul_f16_e32 v96, 0xb836, v37
	v_add_f16_e32 v116, v172, v147
	v_add_f16_e32 v91, v182, v113
	;; [unrolled: 1-line block ×6, first 2 shown]
	v_fmamk_f16 v89, v36, 0xbacd, v96
	v_mul_f16_e32 v90, 0x3a62, v38
	v_fmac_f16_e32 v85, 0xbacd, v35
	v_mul_f16_e32 v95, 0x3a62, v37
	v_add_f16_e32 v114, v166, v140
	v_add_f16_e32 v101, v121, v101
	;; [unrolled: 1-line block ×5, first 2 shown]
	v_fma_f16 v91, v35, 0xb8d2, -v90
	v_add_f16_e32 v68, v85, v68
	v_fmamk_f16 v85, v36, 0xb8d2, v95
	v_fmac_f16_e32 v90, 0xb8d2, v35
	v_mul_f16_e32 v37, 0x3964, v37
	v_add_f16_e32 v92, v183, v114
	v_add_f16_e32 v67, v67, v101
	v_fmac_f16_e32 v94, 0x3722, v35
	v_mul_f16_e32 v38, 0x3964, v38
	v_add_f16_e32 v85, v85, v93
	v_add_f16_e32 v2, v90, v2
	v_fma_f16 v90, v36, 0xb8d2, -v95
	v_fmamk_f16 v93, v36, 0x39e9, v37
	v_fmac_f16_e32 v108, 0x2de8, v35
	v_add_f16_e32 v76, v94, v76
	v_fma_f16 v94, v36, 0xbacd, -v96
	v_add_f16_e32 v91, v91, v92
	v_fma_f16 v92, v35, 0x39e9, -v38
	v_fmac_f16_e32 v38, 0x39e9, v35
	v_fma_f16 v35, v36, 0x39e9, -v37
	v_add_f16_e32 v36, v90, v67
	v_add_f16_e32 v67, v93, v69
	v_mul_f16_e32 v69, 0x3836, v32
	v_add_f16_e32 v42, v108, v42
	v_add_f16_e32 v38, v38, v82
	v_fmac_f16_e32 v39, 0xb461, v26
	v_fma_f16 v40, v27, 0xb461, -v40
	v_add_f16_e32 v0, v35, v0
	v_fma_f16 v35, v26, 0xbacd, -v69
	v_mul_f16_e32 v82, 0x3836, v31
	v_add_f16_e32 v37, v92, v84
	v_add_f16_e32 v39, v39, v42
	;; [unrolled: 1-line block ×3, first 2 shown]
	v_mul_f16_e32 v42, 0x3964, v32
	v_add_f16_e32 v35, v35, v78
	v_fmamk_f16 v77, v27, 0xbacd, v82
	v_fmac_f16_e32 v69, 0xbacd, v26
	v_fma_f16 v78, v27, 0xbacd, -v82
	v_mul_f16_e32 v84, 0x3964, v31
	v_fma_f16 v82, v26, 0x39e9, -v42
	v_add_f16_e32 v73, v77, v73
	v_add_f16_e32 v69, v69, v79
	;; [unrolled: 1-line block ×3, first 2 shown]
	v_fmamk_f16 v78, v27, 0x39e9, v84
	v_mul_f16_e32 v79, 0xbb29, v32
	v_add_f16_e32 v74, v82, v74
	v_fmac_f16_e32 v42, 0x39e9, v26
	v_fma_f16 v80, v27, 0x39e9, -v84
	v_mul_f16_e32 v82, 0xbb29, v31
	v_add_f16_e32 v78, v78, v81
	v_fma_f16 v81, v26, 0x3722, -v79
	v_mul_f16_e32 v84, 0xb1e1, v32
	v_fmac_f16_e32 v79, 0x3722, v26
	v_add_f16_e32 v42, v42, v86
	v_add_f16_e32 v65, v80, v65
	v_fmamk_f16 v80, v27, 0x3722, v82
	v_add_f16_e32 v81, v81, v83
	v_fma_f16 v82, v27, 0x3722, -v82
	v_fma_f16 v83, v26, 0xbbdd, -v84
	v_mul_f16_e32 v86, 0xb1e1, v31
	v_add_f16_e32 v66, v79, v66
	v_mul_f16_e32 v79, 0x3bf7, v32
	v_add_f16_e32 v80, v80, v87
	v_add_f16_e32 v71, v82, v71
	;; [unrolled: 1-line block ×3, first 2 shown]
	v_fmamk_f16 v82, v27, 0xbbdd, v86
	v_fma_f16 v83, v27, 0xbbdd, -v86
	v_fma_f16 v86, v26, 0x2de8, -v79
	v_mul_f16_e32 v87, 0x3bf7, v31
	v_fmac_f16_e32 v84, 0xbbdd, v26
	v_add_f16_e32 v75, v82, v75
	v_add_f16_e32 v41, v83, v41
	;; [unrolled: 1-line block ×3, first 2 shown]
	v_fmamk_f16 v83, v27, 0x2de8, v87
	v_fmac_f16_e32 v79, 0x2de8, v26
	v_fma_f16 v86, v27, 0x2de8, -v87
	v_mul_f16_e32 v87, 0xb5c8, v31
	v_add_f16_e32 v76, v84, v76
	v_mul_f16_e32 v84, 0xb5c8, v32
	v_add_f16_e32 v68, v79, v68
	v_mul_f16_e32 v32, 0xba62, v32
	v_fmamk_f16 v79, v27, 0x3b76, v87
	v_mul_f16_e32 v31, 0xba62, v31
	v_fma_f16 v88, v26, 0x3b76, -v84
	v_fmac_f16_e32 v84, 0x3b76, v26
	v_fmac_f16_e32 v33, 0xb8d2, v12
	v_add_f16_e32 v79, v79, v85
	v_fma_f16 v85, v26, 0xb8d2, -v32
	v_fmac_f16_e32 v32, 0xb8d2, v26
	v_add_f16_e32 v2, v84, v2
	v_fma_f16 v84, v27, 0x3b76, -v87
	v_fmamk_f16 v87, v27, 0xb8d2, v31
	v_fma_f16 v26, v27, 0xb8d2, -v31
	v_add_f16_e32 v31, v85, v37
	v_mul_f16_e32 v37, 0x3bb2, v15
	v_add_f16_e32 v32, v32, v38
	v_fma_f16 v34, v13, 0xb8d2, -v34
	v_add_f16_e32 v0, v26, v0
	v_mul_f16_e32 v38, 0x3bb2, v14
	v_fma_f16 v26, v12, 0xb461, -v37
	v_add_f16_e32 v33, v33, v39
	v_mul_f16_e32 v39, 0xb5c8, v15
	v_add_f16_e32 v27, v84, v36
	v_add_f16_e32 v36, v87, v67
	;; [unrolled: 1-line block ×4, first 2 shown]
	v_fmamk_f16 v35, v13, 0xb461, v38
	v_fmac_f16_e32 v37, 0xb461, v12
	v_fma_f16 v40, v12, 0x3b76, -v39
	v_mul_f16_e32 v67, 0xb5c8, v14
	v_fma_f16 v38, v13, 0xb461, -v38
	v_add_f16_e32 v35, v35, v73
	v_add_f16_e32 v37, v37, v69
	;; [unrolled: 1-line block ×3, first 2 shown]
	v_fmamk_f16 v69, v13, 0x3b76, v67
	v_mul_f16_e32 v73, 0xb836, v15
	v_fmac_f16_e32 v39, 0x3b76, v12
	v_fma_f16 v67, v13, 0x3b76, -v67
	v_mul_f16_e32 v74, 0xb836, v14
	v_add_f16_e32 v38, v38, v77
	v_fma_f16 v77, v12, 0xbacd, -v73
	v_add_f16_e32 v39, v39, v42
	v_add_f16_e32 v42, v67, v65
	v_fmamk_f16 v65, v13, 0xbacd, v74
	v_mul_f16_e32 v67, 0x3bf7, v15
	v_fmac_f16_e32 v73, 0xbacd, v12
	v_add_f16_e32 v69, v69, v78
	v_fma_f16 v74, v13, 0xbacd, -v74
	v_add_f16_e32 v65, v65, v80
	v_fma_f16 v78, v12, 0x2de8, -v67
	v_mul_f16_e32 v80, 0x3bf7, v14
	v_add_f16_e32 v66, v73, v66
	v_mul_f16_e32 v73, 0xb964, v15
	v_add_f16_e32 v77, v77, v81
	v_add_f16_e32 v71, v74, v71
	;; [unrolled: 1-line block ×3, first 2 shown]
	v_fmamk_f16 v74, v13, 0x2de8, v80
	v_fmac_f16_e32 v67, 0x2de8, v12
	v_fma_f16 v78, v13, 0x2de8, -v80
	v_fma_f16 v80, v12, 0x39e9, -v73
	v_mul_f16_e32 v81, 0xb964, v14
	v_add_f16_e32 v74, v74, v75
	v_add_f16_e32 v67, v67, v76
	v_fmac_f16_e32 v73, 0x39e9, v12
	v_add_f16_e32 v75, v80, v82
	v_fmamk_f16 v76, v13, 0x39e9, v81
	v_fma_f16 v80, v13, 0x39e9, -v81
	v_mul_f16_e32 v81, 0xb1e1, v14
	v_add_f16_e32 v41, v78, v41
	v_mul_f16_e32 v78, 0xb1e1, v15
	v_add_f16_e32 v68, v73, v68
	v_mul_f16_e32 v15, 0x3b29, v15
	v_fmamk_f16 v73, v13, 0xbbdd, v81
	v_mul_f16_e32 v14, 0x3b29, v14
	v_fma_f16 v82, v12, 0xbbdd, -v78
	v_fmac_f16_e32 v78, 0xbbdd, v12
	v_fmac_f16_e32 v24, 0xbacd, v6
	v_add_f16_e32 v73, v73, v79
	v_fma_f16 v79, v12, 0x3722, -v15
	v_fmac_f16_e32 v15, 0x3722, v12
	v_add_f16_e32 v2, v78, v2
	v_fma_f16 v78, v13, 0xbbdd, -v81
	v_fmamk_f16 v81, v13, 0x3722, v14
	v_fma_f16 v12, v13, 0x3722, -v14
	v_add_f16_e32 v14, v79, v31
	v_mul_f16_e32 v31, 0x3b29, v9
	v_add_f16_e32 v15, v15, v32
	v_mul_f16_e32 v32, 0x3b29, v8
	v_add_f16_e32 v0, v12, v0
	v_add_f16_e32 v13, v78, v27
	v_fma_f16 v12, v6, 0x3722, -v31
	v_add_f16_e32 v27, v81, v36
	v_fma_f16 v25, v7, 0xbacd, -v25
	v_add_f16_e32 v24, v24, v33
	v_mul_f16_e32 v33, 0xbbf7, v9
	v_add_f16_e32 v12, v12, v26
	v_fmamk_f16 v26, v7, 0x3722, v32
	v_fmac_f16_e32 v31, 0x3722, v6
	v_fma_f16 v32, v7, 0x3722, -v32
	v_mul_f16_e32 v36, 0xbbf7, v8
	v_add_f16_e32 v98, v120, v98
	v_add_f16_e32 v25, v25, v34
	v_fma_f16 v34, v6, 0x2de8, -v33
	v_add_f16_e32 v26, v26, v35
	v_add_f16_e32 v31, v31, v37
	;; [unrolled: 1-line block ×3, first 2 shown]
	v_fmamk_f16 v35, v7, 0x2de8, v36
	v_mul_f16_e32 v37, 0x3a62, v9
	v_fmac_f16_e32 v33, 0x2de8, v6
	v_fma_f16 v36, v7, 0x2de8, -v36
	v_mul_f16_e32 v38, 0x3a62, v8
	v_add_f16_e32 v70, v131, v98
	v_add_f16_e32 v34, v34, v40
	v_fma_f16 v40, v6, 0xb8d2, -v37
	v_add_f16_e32 v33, v33, v39
	v_add_f16_e32 v36, v36, v42
	v_fmamk_f16 v39, v7, 0xb8d2, v38
	v_mul_f16_e32 v42, 0xb5c8, v9
	v_fmac_f16_e32 v37, 0xb8d2, v6
	v_add_f16_e32 v70, v94, v70
	v_add_f16_e32 v35, v35, v69
	v_fma_f16 v38, v7, 0xb8d2, -v38
	v_add_f16_e32 v39, v39, v65
	v_fma_f16 v65, v6, 0x3b76, -v42
	v_mul_f16_e32 v69, 0xb5c8, v8
	v_add_f16_e32 v37, v37, v66
	v_mul_f16_e32 v66, 0xb1e1, v9
	v_add_f16_e32 v70, v86, v70
	v_add_f16_e32 v40, v40, v77
	;; [unrolled: 1-line block ×4, first 2 shown]
	v_fmamk_f16 v71, v7, 0x3b76, v69
	v_fmac_f16_e32 v42, 0x3b76, v6
	v_fma_f16 v72, v6, 0xbbdd, -v66
	v_mul_f16_e32 v77, 0xb1e1, v8
	v_add_f16_e32 v83, v83, v89
	v_add_f16_e32 v70, v80, v70
	v_fma_f16 v69, v7, 0x3b76, -v69
	v_add_f16_e32 v71, v71, v74
	v_add_f16_e32 v42, v42, v67
	;; [unrolled: 1-line block ×3, first 2 shown]
	v_fmac_f16_e32 v66, 0xbbdd, v6
	v_fma_f16 v74, v7, 0xbbdd, -v77
	v_mul_f16_e32 v75, 0x3964, v8
	v_add_f16_e32 v76, v76, v83
	v_add_f16_e32 v41, v69, v41
	v_fmamk_f16 v69, v7, 0xbbdd, v77
	v_mul_f16_e32 v72, 0x3964, v9
	v_add_f16_e32 v66, v66, v68
	v_add_f16_e32 v68, v74, v70
	v_fmamk_f16 v70, v7, 0x39e9, v75
	v_mul_f16_e32 v9, 0xbbb2, v9
	v_add_f16_e32 v69, v69, v76
	v_fma_f16 v76, v6, 0x39e9, -v72
	v_fmac_f16_e32 v72, 0x39e9, v6
	v_mul_f16_e32 v8, 0xbbb2, v8
	v_add_f16_e32 v70, v70, v73
	v_fma_f16 v73, v6, 0xb461, -v9
	v_fmac_f16_e32 v9, 0xb461, v6
	v_add_f16_e32 v2, v72, v2
	v_fma_f16 v72, v7, 0x39e9, -v75
	v_fmamk_f16 v75, v7, 0xb461, v8
	v_fma_f16 v6, v7, 0xb461, -v8
	v_add_f16_e32 v8, v73, v14
	v_mul_f16_e32 v14, 0x35c8, v5
	v_add_f16_e32 v9, v9, v15
	v_fmac_f16_e32 v10, 0xbbdd, v1
	v_add_f16_e32 v0, v6, v0
	v_mul_f16_e32 v15, 0x35c8, v4
	v_fma_f16 v6, v1, 0x3b76, -v14
	v_add_f16_e32 v7, v72, v13
	v_add_f16_e32 v13, v75, v27
	v_fma_f16 v11, v3, 0xbbdd, -v11
	v_add_f16_e32 v10, v10, v24
	v_mul_f16_e32 v24, 0xb836, v5
	v_add_f16_e32 v6, v6, v12
	v_fmamk_f16 v12, v3, 0x3b76, v15
	v_fma_f16 v15, v3, 0x3b76, -v15
	v_mul_f16_e32 v27, 0xb836, v4
	v_add_f16_e32 v11, v11, v25
	v_fmac_f16_e32 v14, 0x3b76, v1
	v_fma_f16 v25, v1, 0xbacd, -v24
	v_add_f16_e32 v12, v12, v26
	v_add_f16_e32 v15, v15, v32
	v_fmamk_f16 v26, v3, 0xbacd, v27
	v_fmac_f16_e32 v24, 0xbacd, v1
	v_mul_f16_e32 v32, 0x3964, v4
	v_add_f16_e32 v14, v14, v31
	v_mul_f16_e32 v31, 0x3964, v5
	v_fma_f16 v27, v3, 0xbacd, -v27
	v_add_f16_e32 v26, v26, v35
	v_add_f16_e32 v24, v24, v33
	v_fmamk_f16 v33, v3, 0x39e9, v32
	v_mul_f16_e32 v35, 0xba62, v5
	v_add_f16_e32 v25, v25, v34
	v_fma_f16 v34, v1, 0x39e9, -v31
	v_add_f16_e32 v27, v27, v36
	v_fmac_f16_e32 v31, 0x39e9, v1
	v_fma_f16 v32, v3, 0x39e9, -v32
	v_add_f16_e32 v33, v33, v39
	v_fma_f16 v36, v1, 0xb8d2, -v35
	v_mul_f16_e32 v39, 0xba62, v4
	v_add_f16_e32 v31, v31, v37
	v_add_f16_e32 v32, v32, v38
	v_mul_f16_e32 v37, 0x3b29, v5
	v_add_f16_e32 v36, v36, v65
	v_fmamk_f16 v38, v3, 0xb8d2, v39
	v_fmac_f16_e32 v35, 0xb8d2, v1
	v_fma_f16 v39, v3, 0xb8d2, -v39
	v_mul_f16_e32 v65, 0x3b29, v4
	v_add_f16_e32 v86, v88, v91
	v_add_f16_e32 v34, v34, v40
	v_fma_f16 v40, v1, 0x3722, -v37
	v_add_f16_e32 v35, v35, v42
	v_add_f16_e32 v39, v39, v41
	v_fmamk_f16 v41, v3, 0x3722, v65
	v_mul_f16_e32 v42, 0xbbb2, v5
	v_add_f16_e32 v80, v82, v86
	v_add_f16_e32 v40, v40, v67
	v_fmac_f16_e32 v37, 0x3722, v1
	v_mul_f16_e32 v67, 0xbbb2, v4
	v_add_f16_e32 v41, v41, v69
	v_fma_f16 v69, v1, 0xb461, -v42
	v_fmac_f16_e32 v42, 0xb461, v1
	v_mul_f16_e32 v5, 0x3bf7, v5
	v_add_f16_e32 v74, v76, v80
	v_fma_f16 v65, v3, 0x3722, -v65
	v_add_f16_e32 v37, v37, v66
	v_fmamk_f16 v66, v3, 0xb461, v67
	v_mul_f16_e32 v4, 0x3bf7, v4
	v_add_f16_e32 v2, v42, v2
	v_fma_f16 v42, v3, 0xb461, -v67
	v_fma_f16 v67, v1, 0x2de8, -v5
	v_add_f16_e32 v65, v65, v68
	v_add_f16_e32 v68, v69, v74
	v_fmamk_f16 v69, v3, 0x2de8, v4
	v_fmac_f16_e32 v5, 0x2de8, v1
	v_fma_f16 v1, v3, 0x2de8, -v4
	v_add_f16_e32 v4, v67, v8
	v_and_b32_e32 v8, 0xff, v16
	v_add_f16_e32 v38, v38, v71
	v_pack_b32_f16 v6, v6, v12
	v_add_f16_e32 v0, v1, v0
	v_pack_b32_f16 v1, v25, v26
	v_mul_lo_u16 v8, 0xf1, v8
	v_pack_b32_f16 v25, v40, v41
	v_add_f16_e32 v5, v5, v9
	v_pack_b32_f16 v9, v36, v38
	v_pack_b32_f16 v12, v34, v33
	v_lshrrev_b16 v41, 12, v8
	ds_write2_b32 v62, v6, v1 offset0:2 offset1:3
	ds_write2_b32 v62, v12, v9 offset0:4 offset1:5
	v_add_f16_e32 v66, v66, v70
	v_mul_lo_u16 v1, v41, 17
	v_add_f16_e32 v3, v42, v7
	v_add_f16_e32 v7, v69, v13
	v_pack_b32_f16 v0, v5, v0
	v_pack_b32_f16 v13, v68, v66
	v_sub_nc_u16 v1, v16, v1
	v_pack_b32_f16 v2, v2, v3
	v_pack_b32_f16 v4, v4, v7
	ds_write2_b32 v62, v25, v13 offset0:6 offset1:7
	ds_write2_b32 v62, v4, v0 offset0:8 offset1:9
	v_and_b32_e32 v40, 0xff, v1
	v_pack_b32_f16 v0, v37, v65
	v_pack_b32_f16 v1, v10, v11
	;; [unrolled: 1-line block ×4, first 2 shown]
	v_lshlrev_b32_e32 v12, 6, v40
	v_pack_b32_f16 v5, v14, v15
	v_pack_b32_f16 v6, v24, v27
	ds_write2_b32 v62, v2, v0 offset0:10 offset1:11
	ds_write2_b32 v62, v4, v3 offset0:12 offset1:13
	;; [unrolled: 1-line block ×3, first 2 shown]
	ds_write_b32 v62, v1 offset:64
	s_waitcnt lgkmcnt(0)
	s_barrier
	buffer_gl0_inv
	s_clause 0x3
	global_load_dwordx4 v[8:11], v12, s[2:3]
	global_load_dwordx4 v[0:3], v12, s[2:3] offset:48
	global_load_dwordx4 v[4:7], v12, s[2:3] offset:16
	global_load_dwordx4 v[12:15], v12, s[2:3] offset:32
	ds_read2_b32 v[67:68], v43 offset1:102
	ds_read_b32 v24, v43 offset:6528
	s_waitcnt lgkmcnt(1)
	v_lshrrev_b32_e32 v25, 16, v68
	s_waitcnt lgkmcnt(0)
	v_lshrrev_b32_e32 v27, 16, v24
	s_waitcnt vmcnt(3)
	v_mul_f16_sdwa v26, v68, v8 dst_sel:DWORD dst_unused:UNUSED_PAD src0_sel:DWORD src1_sel:WORD_1
	s_waitcnt vmcnt(2)
	v_mul_f16_sdwa v65, v24, v3 dst_sel:DWORD dst_unused:UNUSED_PAD src0_sel:DWORD src1_sel:WORD_1
	v_mul_f16_sdwa v31, v25, v8 dst_sel:DWORD dst_unused:UNUSED_PAD src0_sel:DWORD src1_sel:WORD_1
	v_fmac_f16_e32 v26, v25, v8
	v_mul_f16_sdwa v25, v27, v3 dst_sel:DWORD dst_unused:UNUSED_PAD src0_sel:DWORD src1_sel:WORD_1
	v_fmac_f16_e32 v65, v27, v3
	v_fma_f16 v27, v68, v8, -v31
	v_add_f16_sdwa v98, v67, v26 dst_sel:DWORD dst_unused:UNUSED_PAD src0_sel:WORD_1 src1_sel:DWORD
	v_fma_f16 v81, v24, v3, -v25
	v_sub_f16_e32 v24, v26, v65
	v_add_f16_e32 v35, v26, v65
	v_add_f16_e32 v97, v67, v27
	v_add_f16_e32 v25, v27, v81
	v_mul_f16_e32 v31, 0xb5c8, v24
	v_mul_f16_e32 v32, 0xb964, v24
	;; [unrolled: 1-line block ×8, first 2 shown]
	v_sub_f16_e32 v24, v27, v81
	v_fma_f16 v71, v25, 0x2de8, -v42
	v_fma_f16 v72, v25, 0xb461, -v66
	;; [unrolled: 1-line block ×4, first 2 shown]
	v_mul_f16_e32 v38, 0xb964, v24
	v_mul_f16_e32 v70, 0xbbf7, v24
	;; [unrolled: 1-line block ×3, first 2 shown]
	v_add_f16_e32 v88, v67, v71
	v_add_f16_e32 v90, v67, v72
	v_fmamk_f16 v69, v35, 0x39e9, v38
	v_fmamk_f16 v83, v35, 0x2de8, v70
	v_fma_f16 v84, v35, 0x2de8, -v70
	v_mul_f16_e32 v70, 0xb836, v24
	ds_read2_b32 v[71:72], v19 offset0:152 offset1:254
	v_add_f16_sdwa v104, v67, v69 dst_sel:DWORD dst_unused:UNUSED_PAD src0_sel:WORD_1 src1_sel:DWORD
	v_fma_f16 v75, v35, 0x39e9, -v38
	v_mul_f16_e32 v38, 0xbbb2, v24
	v_fmamk_f16 v93, v35, 0xbacd, v70
	v_fma_f16 v94, v35, 0xbacd, -v70
	ds_read2_b32 v[69:70], v23 offset0:76 offset1:178
	v_fma_f16 v80, v35, 0x3722, -v39
	v_fma_f16 v33, v25, 0x3b76, -v31
	v_mul_f16_e32 v36, 0xb5c8, v24
	v_fmamk_f16 v85, v35, 0xb461, v38
	v_add_f16_e32 v105, v67, v68
	v_add_f16_sdwa v26, v67, v80 dst_sel:DWORD dst_unused:UNUSED_PAD src0_sel:WORD_1 src1_sel:DWORD
	v_add_f16_sdwa v89, v67, v83 dst_sel:DWORD dst_unused:UNUSED_PAD src0_sel:WORD_1 src1_sel:DWORD
	v_add_f16_e32 v68, v67, v79
	ds_read2_b32 v[79:80], v18 offset0:48 offset1:150
	v_fmac_f16_e32 v31, 0x3b76, v25
	v_fma_f16 v37, v25, 0x39e9, -v32
	v_fmac_f16_e32 v32, 0x39e9, v25
	v_fmac_f16_e32 v34, 0x3722, v25
	;; [unrolled: 1-line block ×4, first 2 shown]
	v_fma_f16 v74, v25, 0xb8d2, -v73
	v_fmac_f16_e32 v73, 0xb8d2, v25
	v_fma_f16 v78, v25, 0xbacd, -v77
	v_fmac_f16_e32 v77, 0xbacd, v25
	s_waitcnt lgkmcnt(1)
	v_lshrrev_b32_e32 v83, 16, v69
	v_fmac_f16_e32 v82, 0xbbdd, v25
	v_fmamk_f16 v25, v35, 0x3b76, v36
	v_fmamk_f16 v76, v35, 0x3722, v39
	v_mul_f16_e32 v39, 0xba62, v24
	v_fma_f16 v86, v35, 0xb461, -v38
	v_mul_f16_e32 v24, 0xb1e1, v24
	v_add_f16_e32 v99, v67, v33
	v_add_f16_sdwa v33, v67, v84 dst_sel:DWORD dst_unused:UNUSED_PAD src0_sel:WORD_1 src1_sel:DWORD
	v_add_f16_sdwa v87, v67, v85 dst_sel:DWORD dst_unused:UNUSED_PAD src0_sel:WORD_1 src1_sel:DWORD
	v_lshrrev_b32_e32 v84, 16, v70
	v_mul_f16_sdwa v85, v83, v9 dst_sel:DWORD dst_unused:UNUSED_PAD src0_sel:DWORD src1_sel:WORD_1
	v_fmamk_f16 v91, v35, 0xb8d2, v39
	v_fma_f16 v92, v35, 0xb8d2, -v39
	v_fmamk_f16 v95, v35, 0xbbdd, v24
	v_add_f16_sdwa v100, v67, v25 dst_sel:DWORD dst_unused:UNUSED_PAD src0_sel:WORD_1 src1_sel:DWORD
	v_add_f16_e32 v103, v67, v37
	v_add_f16_sdwa v39, v67, v75 dst_sel:DWORD dst_unused:UNUSED_PAD src0_sel:WORD_1 src1_sel:DWORD
	v_add_f16_e32 v25, v67, v34
	v_add_f16_e32 v37, v67, v66
	v_add_f16_sdwa v23, v67, v86 dst_sel:DWORD dst_unused:UNUSED_PAD src0_sel:WORD_1 src1_sel:DWORD
	v_add_f16_e32 v75, v67, v74
	v_add_f16_e32 v74, v67, v78
	;; [unrolled: 1-line block ×3, first 2 shown]
	ds_read2_b32 v[77:78], v17 offset0:100 offset1:202
	v_mul_f16_sdwa v86, v84, v10 dst_sel:DWORD dst_unused:UNUSED_PAD src0_sel:DWORD src1_sel:WORD_1
	v_add_f16_e32 v66, v67, v82
	v_fma_f16 v82, v69, v9, -v85
	v_mul_f16_sdwa v85, v69, v9 dst_sel:DWORD dst_unused:UNUSED_PAD src0_sel:DWORD src1_sel:WORD_1
	v_lshrrev_b32_e32 v69, 16, v71
	v_add_f16_e32 v38, v67, v32
	v_add_f16_sdwa v102, v67, v76 dst_sel:DWORD dst_unused:UNUSED_PAD src0_sel:WORD_1 src1_sel:DWORD
	v_add_f16_e32 v32, v67, v42
	v_add_f16_sdwa v76, v67, v91 dst_sel:DWORD dst_unused:UNUSED_PAD src0_sel:WORD_1 src1_sel:DWORD
	;; [unrolled: 2-line block ×3, first 2 shown]
	v_add_f16_sdwa v42, v67, v95 dst_sel:DWORD dst_unused:UNUSED_PAD src0_sel:WORD_1 src1_sel:DWORD
	v_fma_f16 v86, v70, v10, -v86
	v_lshrrev_b32_e32 v91, 16, v72
	v_mul_f16_sdwa v93, v70, v10 dst_sel:DWORD dst_unused:UNUSED_PAD src0_sel:DWORD src1_sel:WORD_1
	v_mul_f16_sdwa v95, v71, v11 dst_sel:DWORD dst_unused:UNUSED_PAD src0_sel:DWORD src1_sel:WORD_1
	;; [unrolled: 1-line block ×3, first 2 shown]
	v_fma_f16 v36, v35, 0x3b76, -v36
	v_fma_f16 v96, v35, 0xbbdd, -v24
	v_add_f16_e32 v35, v67, v31
	v_add_f16_sdwa v31, v67, v92 dst_sel:DWORD dst_unused:UNUSED_PAD src0_sel:WORD_1 src1_sel:DWORD
	v_fmac_f16_e32 v85, v83, v9
	s_waitcnt vmcnt(1)
	v_mul_f16_sdwa v83, v91, v4 dst_sel:DWORD dst_unused:UNUSED_PAD src0_sel:DWORD src1_sel:WORD_1
	v_fmac_f16_e32 v95, v69, v11
	v_fma_f16 v101, v71, v11, -v70
	s_waitcnt lgkmcnt(1)
	v_lshrrev_b32_e32 v92, 16, v79
	ds_read2_b32 v[69:70], v22 offset0:124 offset1:226
	v_fma_f16 v110, v72, v4, -v83
	v_mul_f16_sdwa v114, v72, v4 dst_sel:DWORD dst_unused:UNUSED_PAD src0_sel:DWORD src1_sel:WORD_1
	v_fmac_f16_e32 v93, v84, v10
	v_mul_f16_sdwa v72, v92, v7 dst_sel:DWORD dst_unused:UNUSED_PAD src0_sel:DWORD src1_sel:WORD_1
	s_waitcnt lgkmcnt(1)
	v_lshrrev_b32_e32 v84, 16, v77
	v_lshrrev_b32_e32 v71, 16, v78
	;; [unrolled: 1-line block ×3, first 2 shown]
	v_add_f16_sdwa v36, v67, v36 dst_sel:DWORD dst_unused:UNUSED_PAD src0_sel:WORD_1 src1_sel:DWORD
	v_fma_f16 v113, v79, v7, -v72
	v_add_f16_e32 v72, v97, v82
	v_mul_f16_sdwa v83, v84, v5 dst_sel:DWORD dst_unused:UNUSED_PAD src0_sel:DWORD src1_sel:WORD_1
	v_mul_f16_sdwa v22, v71, v6 dst_sel:DWORD dst_unused:UNUSED_PAD src0_sel:DWORD src1_sel:WORD_1
	v_add_f16_sdwa v24, v67, v94 dst_sel:DWORD dst_unused:UNUSED_PAD src0_sel:WORD_1 src1_sel:DWORD
	v_add_f16_sdwa v67, v67, v96 dst_sel:DWORD dst_unused:UNUSED_PAD src0_sel:WORD_1 src1_sel:DWORD
	v_add_f16_e32 v72, v72, v86
	v_fma_f16 v94, v77, v5, -v83
	s_waitcnt vmcnt(0)
	v_mul_f16_sdwa v83, v108, v12 dst_sel:DWORD dst_unused:UNUSED_PAD src0_sel:DWORD src1_sel:WORD_1
	v_fma_f16 v111, v78, v6, -v22
	v_mul_f16_sdwa v96, v77, v5 dst_sel:DWORD dst_unused:UNUSED_PAD src0_sel:DWORD src1_sel:WORD_1
	v_mul_f16_sdwa v107, v78, v6 dst_sel:DWORD dst_unused:UNUSED_PAD src0_sel:DWORD src1_sel:WORD_1
	;; [unrolled: 1-line block ×3, first 2 shown]
	ds_read2_b32 v[21:22], v21 offset0:72 offset1:174
	s_waitcnt lgkmcnt(1)
	v_lshrrev_b32_e32 v77, 16, v69
	v_add_f16_e32 v78, v72, v101
	v_fma_f16 v116, v80, v12, -v83
	v_mul_f16_sdwa v106, v79, v7 dst_sel:DWORD dst_unused:UNUSED_PAD src0_sel:DWORD src1_sel:WORD_1
	v_fmac_f16_e32 v107, v71, v6
	v_fmac_f16_e32 v120, v108, v12
	v_mul_f16_sdwa v108, v69, v13 dst_sel:DWORD dst_unused:UNUSED_PAD src0_sel:DWORD src1_sel:WORD_1
	v_mul_f16_sdwa v79, v77, v13 dst_sel:DWORD dst_unused:UNUSED_PAD src0_sel:DWORD src1_sel:WORD_1
	v_lshrrev_b32_e32 v80, 16, v70
	ds_read2_b32 v[71:72], v20 offset0:148 offset1:250
	v_add_f16_e32 v20, v78, v110
	v_add_f16_e32 v78, v98, v85
	v_fmac_f16_e32 v108, v77, v13
	v_fma_f16 v112, v69, v13, -v79
	v_mul_f16_sdwa v69, v80, v14 dst_sel:DWORD dst_unused:UNUSED_PAD src0_sel:DWORD src1_sel:WORD_1
	v_add_f16_e32 v20, v20, v94
	v_add_f16_e32 v77, v78, v93
	v_fmac_f16_e32 v114, v91, v4
	v_fmac_f16_e32 v96, v84, v5
	v_fma_f16 v98, v70, v14, -v69
	v_add_f16_e32 v20, v20, v111
	v_add_f16_e32 v69, v77, v95
	s_waitcnt lgkmcnt(1)
	v_lshrrev_b32_e32 v78, 16, v21
	v_mul_f16_sdwa v118, v70, v14 dst_sel:DWORD dst_unused:UNUSED_PAD src0_sel:DWORD src1_sel:WORD_1
	v_fmac_f16_e32 v106, v92, v7
	v_add_f16_e32 v20, v20, v113
	v_add_f16_e32 v69, v69, v114
	v_mul_f16_sdwa v77, v78, v15 dst_sel:DWORD dst_unused:UNUSED_PAD src0_sel:DWORD src1_sel:WORD_1
	v_lshrrev_b32_e32 v79, 16, v22
	s_waitcnt lgkmcnt(0)
	v_lshrrev_b32_e32 v70, 16, v71
	v_add_f16_e32 v20, v20, v116
	v_add_f16_e32 v69, v69, v96
	v_fma_f16 v97, v21, v15, -v77
	v_mul_f16_sdwa v115, v21, v15 dst_sel:DWORD dst_unused:UNUSED_PAD src0_sel:DWORD src1_sel:WORD_1
	v_mul_f16_sdwa v21, v70, v1 dst_sel:DWORD dst_unused:UNUSED_PAD src0_sel:DWORD src1_sel:WORD_1
	v_add_f16_e32 v20, v20, v112
	v_add_f16_e32 v69, v69, v107
	v_mul_f16_sdwa v83, v79, v0 dst_sel:DWORD dst_unused:UNUSED_PAD src0_sel:DWORD src1_sel:WORD_1
	v_lshrrev_b32_e32 v77, 16, v72
	v_fma_f16 v92, v71, v1, -v21
	v_add_f16_e32 v20, v20, v98
	v_add_f16_e32 v21, v69, v106
	v_fma_f16 v84, v22, v0, -v83
	v_mul_f16_sdwa v83, v77, v2 dst_sel:DWORD dst_unused:UNUSED_PAD src0_sel:DWORD src1_sel:WORD_1
	v_mul_f16_sdwa v121, v72, v2 dst_sel:DWORD dst_unused:UNUSED_PAD src0_sel:DWORD src1_sel:WORD_1
	v_add_f16_e32 v20, v20, v97
	v_add_f16_e32 v21, v21, v120
	v_mul_f16_sdwa v109, v22, v0 dst_sel:DWORD dst_unused:UNUSED_PAD src0_sel:DWORD src1_sel:WORD_1
	v_fma_f16 v69, v72, v2, -v83
	v_mul_f16_sdwa v119, v71, v1 dst_sel:DWORD dst_unused:UNUSED_PAD src0_sel:DWORD src1_sel:WORD_1
	v_fmac_f16_e32 v118, v80, v14
	v_fmac_f16_e32 v121, v77, v2
	v_add_f16_e32 v20, v20, v84
	v_add_f16_e32 v21, v21, v108
	v_fmac_f16_e32 v115, v78, v15
	v_fmac_f16_e32 v109, v79, v0
	;; [unrolled: 1-line block ×3, first 2 shown]
	v_sub_f16_e32 v80, v85, v121
	v_add_f16_e32 v70, v20, v92
	v_add_f16_e32 v21, v21, v118
	v_sub_f16_e32 v79, v82, v69
	v_add_f16_e32 v20, v82, v69
	v_mul_f16_e32 v22, 0xb964, v80
	v_add_f16_e32 v70, v70, v69
	v_add_f16_e32 v71, v21, v115
	;; [unrolled: 1-line block ×3, first 2 shown]
	v_mul_f16_e32 v69, 0xb964, v79
	v_fma_f16 v72, v20, 0x39e9, -v22
	v_sub_f16_e32 v91, v93, v119
	v_add_f16_e32 v85, v71, v109
	v_add_f16_e32 v117, v70, v81
	v_fmamk_f16 v71, v21, 0x39e9, v69
	v_add_f16_e32 v78, v72, v99
	v_add_f16_e32 v70, v86, v92
	v_mul_f16_e32 v72, 0xbb29, v91
	v_sub_f16_e32 v92, v86, v92
	v_add_f16_e32 v86, v71, v100
	v_sub_f16_e32 v100, v95, v109
	v_add_f16_e32 v71, v93, v119
	v_fma_f16 v82, v70, 0x3722, -v72
	v_mul_f16_e32 v83, 0xbb29, v92
	v_add_f16_e32 v77, v101, v84
	v_sub_f16_e32 v99, v101, v84
	v_mul_f16_e32 v81, 0xbbf7, v100
	v_add_f16_e32 v84, v82, v78
	v_fmamk_f16 v93, v71, 0x3722, v83
	v_add_f16_e32 v78, v95, v109
	v_mul_f16_e32 v82, 0xbbf7, v99
	v_fma_f16 v95, v77, 0x2de8, -v81
	v_sub_f16_e32 v109, v114, v115
	v_add_f16_e32 v101, v85, v119
	v_add_f16_e32 v85, v93, v86
	v_fmamk_f16 v93, v78, 0x2de8, v82
	v_add_f16_e32 v119, v95, v84
	v_add_f16_e32 v84, v110, v97
	v_mul_f16_e32 v86, 0xbbb2, v109
	v_sub_f16_e32 v110, v110, v97
	v_add_f16_e32 v122, v93, v85
	v_add_f16_e32 v85, v114, v115
	v_sub_f16_e32 v115, v96, v118
	v_fma_f16 v123, v84, 0xb461, -v86
	v_mul_f16_e32 v97, 0xbbb2, v110
	v_sub_f16_e32 v114, v94, v98
	v_add_f16_e32 v93, v94, v98
	v_mul_f16_e32 v95, 0xba62, v115
	v_add_f16_e32 v98, v123, v119
	v_fmamk_f16 v119, v85, 0xb461, v97
	v_add_f16_e32 v94, v96, v118
	v_mul_f16_e32 v96, 0xba62, v114
	v_fma_f16 v123, v93, 0xb8d2, -v95
	v_add_f16_e32 v124, v101, v121
	v_sub_f16_e32 v118, v107, v108
	v_add_f16_e32 v121, v119, v122
	v_fmamk_f16 v122, v94, 0xb8d2, v96
	v_add_f16_e32 v125, v123, v98
	v_add_f16_e32 v98, v111, v112
	v_mul_f16_e32 v101, 0xb836, v118
	v_sub_f16_e32 v119, v111, v112
	v_add_f16_e32 v122, v122, v121
	v_sub_f16_e32 v121, v106, v120
	v_add_f16_e32 v111, v107, v108
	v_fma_f16 v126, v98, 0xbacd, -v101
	v_mul_f16_e32 v112, 0xb836, v119
	v_add_f16_e32 v107, v113, v116
	v_mul_f16_e32 v108, 0xb1e1, v121
	v_sub_f16_e32 v123, v113, v116
	v_add_f16_e32 v116, v126, v125
	v_fmamk_f16 v125, v111, 0xbacd, v112
	v_add_f16_e32 v106, v106, v120
	v_fma_f16 v120, v107, 0xbbdd, -v108
	v_mul_f16_e32 v113, 0xb1e1, v123
	v_mov_b32_e32 v126, 0x121
	v_add_f16_e32 v124, v124, v65
	v_add_f16_e32 v65, v125, v122
	;; [unrolled: 1-line block ×3, first 2 shown]
	v_fmamk_f16 v116, v106, 0xbbdd, v113
	v_mul_u32_u24_sdwa v41, v41, v126 dst_sel:DWORD dst_unused:UNUSED_PAD src0_sel:WORD_0 src1_sel:DWORD
	v_mul_f16_e32 v140, 0xbbf7, v79
	v_mul_f16_e32 v139, 0xbbf7, v80
	;; [unrolled: 1-line block ×3, first 2 shown]
	v_add_f16_e32 v143, v116, v65
	v_add_lshl_u32 v65, v41, v40, 2
	v_fmamk_f16 v41, v21, 0x2de8, v140
	v_mul_f16_e32 v138, 0xba62, v80
	v_fma_f16 v40, v20, 0x2de8, -v139
	v_mul_f16_e32 v135, 0xba62, v91
	v_mul_f16_e32 v137, 0xba62, v92
	v_add_f16_e32 v41, v41, v104
	v_fmamk_f16 v104, v21, 0xb8d2, v141
	v_fma_f16 v116, v20, 0xb8d2, -v138
	v_add_f16_e32 v40, v40, v103
	v_mul_f16_e32 v131, 0xb1e1, v100
	v_mul_f16_e32 v134, 0x31e1, v91
	v_add_f16_e32 v102, v104, v102
	v_fma_f16 v104, v70, 0xb8d2, -v135
	v_add_f16_e32 v103, v116, v105
	v_mul_f16_e32 v136, 0x31e1, v92
	v_fmamk_f16 v105, v71, 0xb8d2, v137
	v_mul_f16_e32 v133, 0xb1e1, v99
	v_add_f16_e32 v40, v104, v40
	v_fma_f16 v104, v77, 0xbbdd, -v131
	v_pack_b32_f16 v144, v117, v124
	v_fma_f16 v116, v70, 0xbbdd, -v134
	v_fmamk_f16 v117, v71, 0xbbdd, v136
	v_add_f16_e32 v41, v105, v41
	v_mul_f16_e32 v130, 0x3bb2, v100
	v_mul_f16_e32 v132, 0x3bb2, v99
	;; [unrolled: 1-line block ×3, first 2 shown]
	v_add_f16_e32 v40, v104, v40
	v_fmamk_f16 v104, v78, 0xbbdd, v133
	v_mul_f16_e32 v128, 0x3836, v110
	v_add_f16_e32 v103, v116, v103
	v_add_f16_e32 v102, v117, v102
	v_fma_f16 v105, v77, 0xb461, -v130
	v_fmamk_f16 v116, v78, 0xb461, v132
	v_fma_f16 v117, v84, 0xbacd, -v126
	v_add_f16_e32 v41, v104, v41
	v_fmamk_f16 v104, v85, 0xbacd, v128
	v_mul_f16_e32 v127, 0x3964, v109
	v_mul_f16_e32 v129, 0x3964, v110
	;; [unrolled: 1-line block ×3, first 2 shown]
	v_add_f16_e32 v103, v105, v103
	v_add_f16_e32 v102, v116, v102
	;; [unrolled: 1-line block ×3, first 2 shown]
	v_mul_f16_e32 v122, 0x3bb2, v115
	v_add_f16_e32 v41, v104, v41
	v_fma_f16 v104, v84, 0x39e9, -v127
	v_fmamk_f16 v105, v85, 0x39e9, v129
	v_fmamk_f16 v117, v94, 0xb461, v124
	v_mul_f16_e32 v120, 0xb5c8, v115
	v_fma_f16 v116, v93, 0xb461, -v122
	v_add_f16_e32 v103, v104, v103
	v_add_f16_e32 v102, v105, v102
	;; [unrolled: 1-line block ×3, first 2 shown]
	v_fma_f16 v117, v93, 0x3b76, -v120
	v_mul_f16_e32 v125, 0xb5c8, v114
	v_mul_f16_e32 v105, 0x3b29, v118
	;; [unrolled: 1-line block ×3, first 2 shown]
	v_add_f16_e32 v40, v116, v40
	v_mul_f16_e32 v116, 0x3b29, v119
	v_add_f16_e32 v103, v117, v103
	v_fmamk_f16 v145, v94, 0x3b76, v125
	v_fma_f16 v146, v98, 0x3722, -v105
	v_fma_f16 v148, v98, 0x2de8, -v104
	v_mul_f16_e32 v117, 0xbbf7, v119
	v_fmamk_f16 v147, v111, 0x3722, v116
	v_add_f16_e32 v145, v145, v102
	v_add_f16_e32 v146, v146, v40
	;; [unrolled: 1-line block ×3, first 2 shown]
	v_fmamk_f16 v149, v111, 0x2de8, v117
	v_mul_f16_e32 v102, 0x35c8, v121
	v_mul_f16_e32 v103, 0x35c8, v123
	;; [unrolled: 1-line block ×3, first 2 shown]
	v_add_f16_e32 v147, v147, v41
	v_mul_f16_e32 v41, 0xb836, v123
	v_add_f16_e32 v145, v149, v145
	v_fma_f16 v149, v107, 0x3b76, -v102
	v_fmamk_f16 v150, v106, 0x3b76, v103
	v_fma_f16 v151, v107, 0xbacd, -v40
	v_fmamk_f16 v152, v106, 0xbacd, v41
	v_pack_b32_f16 v142, v142, v143
	v_add_f16_e32 v143, v149, v146
	v_add_f16_e32 v146, v150, v147
	;; [unrolled: 1-line block ×3, first 2 shown]
	v_mul_f16_e32 v148, 0xb1e1, v80
	v_mul_f16_e32 v149, 0xb1e1, v79
	v_add_f16_e32 v145, v152, v145
	s_barrier
	buffer_gl0_inv
	v_pack_b32_f16 v146, v143, v146
	v_mul_f16_e32 v150, 0x3836, v80
	ds_write2_b32 v65, v144, v142 offset1:17
	v_fma_f16 v142, v20, 0xbbdd, -v148
	v_fmamk_f16 v143, v21, 0xbbdd, v149
	v_mul_f16_e32 v151, 0x3836, v79
	v_mul_f16_e32 v152, 0x3bb2, v91
	v_fma_f16 v144, v20, 0xbacd, -v150
	v_add_f16_e32 v88, v142, v88
	v_add_f16_e32 v89, v143, v89
	v_fmamk_f16 v142, v21, 0xbacd, v151
	v_fma_f16 v143, v70, 0xb461, -v152
	v_mul_f16_e32 v153, 0x3bb2, v92
	v_mul_f16_e32 v154, 0x3964, v91
	v_add_f16_e32 v90, v144, v90
	v_mul_f16_e32 v155, 0x3964, v92
	v_add_f16_e32 v87, v142, v87
	v_add_f16_e32 v88, v143, v88
	v_fmamk_f16 v142, v71, 0xb461, v153
	v_fma_f16 v143, v70, 0x39e9, -v154
	v_mul_f16_e32 v156, 0x35c8, v100
	v_mul_f16_e32 v157, 0x35c8, v99
	v_fmamk_f16 v144, v71, 0x39e9, v155
	v_add_f16_e32 v89, v142, v89
	v_add_f16_e32 v90, v143, v90
	v_fma_f16 v142, v77, 0x3b76, -v156
	v_fmamk_f16 v143, v78, 0x3b76, v157
	v_mul_f16_e32 v158, 0xbb29, v100
	v_mul_f16_e32 v159, 0xbb29, v99
	v_add_f16_e32 v87, v144, v87
	v_mul_f16_e32 v160, 0xbb29, v109
	v_add_f16_e32 v88, v142, v88
	v_add_f16_e32 v89, v143, v89
	v_fma_f16 v142, v77, 0x3722, -v158
	v_fmamk_f16 v143, v78, 0x3722, v159
	v_mul_f16_e32 v161, 0xbb29, v110
	v_mul_f16_e32 v162, 0xb1e1, v109
	v_fma_f16 v144, v84, 0x3722, -v160
	v_add_f16_e32 v90, v142, v90
	v_add_f16_e32 v87, v143, v87
	v_fmamk_f16 v142, v85, 0x3722, v161
	v_fma_f16 v143, v84, 0xbbdd, -v162
	v_mul_f16_e32 v163, 0xb1e1, v110
	v_mul_f16_e32 v164, 0xb836, v115
	;; [unrolled: 1-line block ×3, first 2 shown]
	v_add_f16_e32 v88, v144, v88
	v_add_f16_e32 v89, v142, v89
	;; [unrolled: 1-line block ×3, first 2 shown]
	v_fmamk_f16 v142, v85, 0xbbdd, v163
	v_fma_f16 v143, v93, 0xbacd, -v164
	v_fmamk_f16 v144, v94, 0xbacd, v165
	v_mul_f16_e32 v166, 0x3bf7, v115
	v_mul_f16_e32 v167, 0x3bf7, v114
	v_pack_b32_f16 v147, v147, v145
	v_add_f16_e32 v87, v142, v87
	v_add_f16_e32 v88, v143, v88
	;; [unrolled: 1-line block ×3, first 2 shown]
	v_fma_f16 v145, v93, 0x2de8, -v166
	v_fmamk_f16 v168, v94, 0x2de8, v167
	v_mul_f16_e32 v142, 0x3a62, v118
	v_mul_f16_e32 v144, 0x3a62, v119
	;; [unrolled: 1-line block ×3, first 2 shown]
	v_add_f16_e32 v169, v145, v90
	v_add_f16_e32 v168, v168, v87
	v_fma_f16 v87, v98, 0xb8d2, -v142
	v_fmamk_f16 v170, v111, 0xb8d2, v144
	v_fma_f16 v171, v98, 0x3b76, -v143
	v_mul_f16_e32 v145, 0xb5c8, v119
	v_mul_f16_e32 v90, 0x3964, v121
	v_add_f16_e32 v172, v87, v88
	v_add_f16_e32 v170, v170, v89
	;; [unrolled: 1-line block ×3, first 2 shown]
	v_fmamk_f16 v171, v111, 0x3b76, v145
	v_fma_f16 v173, v107, 0x39e9, -v90
	v_mul_f16_e32 v87, 0x3964, v123
	v_mul_f16_e32 v89, 0xba62, v123
	;; [unrolled: 1-line block ×3, first 2 shown]
	v_add_f16_e32 v168, v171, v168
	v_add_f16_e32 v171, v173, v172
	v_fmamk_f16 v172, v106, 0x39e9, v87
	v_fmamk_f16 v174, v106, 0xb8d2, v89
	v_mul_f16_e32 v175, 0x3bb2, v80
	v_fma_f16 v173, v107, 0xb8d2, -v88
	v_mul_f16_e32 v176, 0x3bb2, v79
	v_add_f16_e32 v170, v172, v170
	v_add_f16_e32 v168, v174, v168
	v_fma_f16 v172, v20, 0xb461, -v175
	v_mul_f16_e32 v174, 0x3b29, v80
	v_add_f16_e32 v169, v173, v169
	v_fmamk_f16 v173, v21, 0xb461, v176
	v_mul_f16_e32 v177, 0x3b29, v79
	v_add_f16_e32 v75, v172, v75
	v_fma_f16 v172, v20, 0x3722, -v174
	v_mul_f16_e32 v179, 0xb5c8, v92
	v_mul_f16_e32 v178, 0xb5c8, v91
	v_add_f16_e32 v76, v173, v76
	v_fmamk_f16 v173, v21, 0x3722, v177
	v_mul_f16_e32 v181, 0xbbf7, v91
	v_mul_f16_e32 v182, 0xbbf7, v92
	v_add_f16_e32 v74, v172, v74
	v_fmamk_f16 v172, v71, 0x3b76, v179
	v_fma_f16 v180, v70, 0x3b76, -v178
	v_add_f16_e32 v73, v173, v73
	v_fma_f16 v173, v70, 0x2de8, -v181
	v_fmamk_f16 v183, v71, 0x2de8, v182
	v_add_f16_e32 v76, v172, v76
	v_mul_f16_e32 v172, 0xb836, v100
	v_add_f16_e32 v75, v180, v75
	v_add_f16_e32 v74, v173, v74
	;; [unrolled: 1-line block ×3, first 2 shown]
	v_mul_f16_e32 v173, 0xb836, v99
	v_fma_f16 v183, v77, 0xbacd, -v172
	v_mul_f16_e32 v184, 0x3a62, v99
	v_mul_f16_e32 v180, 0x3a62, v100
	;; [unrolled: 1-line block ×3, first 2 shown]
	v_fmamk_f16 v186, v78, 0xbacd, v173
	v_add_f16_e32 v75, v183, v75
	v_fmamk_f16 v183, v78, 0xb8d2, v184
	v_fma_f16 v187, v77, 0xb8d2, -v180
	v_fma_f16 v188, v84, 0x2de8, -v185
	v_add_f16_e32 v76, v186, v76
	v_mul_f16_e32 v186, 0x3bf7, v110
	v_add_f16_e32 v73, v183, v73
	v_mul_f16_e32 v183, 0xb5c8, v109
	v_add_f16_e32 v74, v187, v74
	v_add_f16_e32 v75, v188, v75
	v_mul_f16_e32 v187, 0xb5c8, v110
	v_fmamk_f16 v188, v85, 0x2de8, v186
	v_mul_f16_e32 v190, 0xb964, v114
	v_fma_f16 v191, v84, 0x3b76, -v183
	v_mul_f16_e32 v189, 0xb964, v115
	v_fmamk_f16 v192, v85, 0x3b76, v187
	v_add_f16_e32 v76, v188, v76
	v_fmamk_f16 v193, v94, 0x39e9, v190
	v_add_f16_e32 v74, v191, v74
	v_mul_f16_e32 v191, 0xb1e1, v115
	v_fma_f16 v188, v93, 0x39e9, -v189
	v_add_f16_e32 v73, v192, v73
	v_add_f16_e32 v76, v193, v76
	v_mul_f16_e32 v192, 0xb1e1, v118
	v_fma_f16 v193, v93, 0xbbdd, -v191
	v_mul_f16_e32 v194, 0xb1e1, v119
	v_add_f16_e32 v75, v188, v75
	v_mul_f16_e32 v80, 0x35c8, v80
	v_fma_f16 v197, v98, 0xbbdd, -v192
	v_add_f16_e32 v74, v193, v74
	v_fmamk_f16 v193, v111, 0xbbdd, v194
	v_mul_f16_e32 v79, 0x35c8, v79
	v_pack_b32_f16 v170, v171, v170
	v_add_f16_e32 v75, v197, v75
	v_mul_f16_e32 v197, 0x3b29, v123
	v_add_f16_e32 v76, v193, v76
	v_mul_f16_e32 v193, 0x3b29, v121
	v_fma_f16 v171, v20, 0x3b76, -v80
	v_mul_f16_e32 v91, 0xb836, v91
	v_fmamk_f16 v202, v106, 0x3722, v197
	v_fmac_f16_e32 v80, 0x3b76, v20
	v_fma_f16 v201, v107, 0x3722, -v193
	v_add_f16_e32 v68, v171, v68
	v_mul_f16_e32 v92, 0xb836, v92
	v_add_f16_e32 v76, v202, v76
	v_add_f16_e32 v66, v80, v66
	;; [unrolled: 1-line block ×3, first 2 shown]
	v_mul_f16_e32 v99, 0x3964, v99
	v_fma_f16 v80, v71, 0xbacd, -v92
	v_mul_f16_e32 v188, 0xb1e1, v114
	v_mul_f16_e32 v195, 0x3964, v118
	v_pack_b32_f16 v75, v75, v76
	v_fmamk_f16 v76, v21, 0x3b76, v79
	v_fma_f16 v79, v21, 0x3b76, -v79
	v_fmamk_f16 v196, v94, 0xbbdd, v188
	v_fma_f16 v198, v98, 0x39e9, -v195
	v_mul_f16_e32 v199, 0xbbb2, v121
	v_add_f16_e32 v42, v76, v42
	v_fma_f16 v76, v70, 0xbacd, -v91
	v_add_f16_e32 v67, v79, v67
	v_mul_f16_e32 v79, 0x3964, v100
	v_fmac_f16_e32 v91, 0xbacd, v70
	v_add_f16_e32 v73, v196, v73
	v_add_f16_e32 v68, v76, v68
	v_fmamk_f16 v76, v71, 0xbacd, v92
	v_fma_f16 v92, v77, 0x39e9, -v79
	v_add_f16_e32 v67, v80, v67
	v_mul_f16_e32 v80, 0xba62, v109
	v_add_f16_e32 v66, v91, v66
	v_add_f16_e32 v42, v76, v42
	v_fmamk_f16 v76, v78, 0x39e9, v99
	v_add_f16_e32 v68, v92, v68
	v_fmac_f16_e32 v79, 0x39e9, v77
	v_fma_f16 v91, v78, 0x39e9, -v99
	v_mul_f16_e32 v92, 0xba62, v110
	v_add_f16_e32 v42, v76, v42
	v_fma_f16 v76, v84, 0xb8d2, -v80
	v_add_f16_e32 v66, v79, v66
	v_add_f16_e32 v67, v91, v67
	v_fmamk_f16 v79, v85, 0xb8d2, v92
	v_mul_f16_e32 v91, 0x3b29, v115
	v_add_f16_e32 v68, v76, v68
	v_fma_f16 v76, v85, 0xb8d2, -v92
	v_fmac_f16_e32 v80, 0xb8d2, v84
	v_add_f16_e32 v42, v79, v42
	v_fma_f16 v79, v93, 0x3722, -v91
	v_mul_f16_e32 v92, 0x3b29, v114
	v_add_f16_e32 v67, v76, v67
	v_mul_f16_e32 v76, 0xbbb2, v118
	v_add_f16_e32 v66, v80, v66
	v_add_f16_e32 v68, v79, v68
	v_fmamk_f16 v79, v94, 0x3722, v92
	v_fmac_f16_e32 v91, 0x3722, v93
	v_fma_f16 v80, v94, 0x3722, -v92
	v_fma_f16 v92, v98, 0xb461, -v76
	v_mul_f16_e32 v99, 0xbbb2, v119
	v_mul_f16_e32 v196, 0x3964, v119
	v_add_f16_e32 v42, v79, v42
	v_add_f16_e32 v66, v91, v66
	;; [unrolled: 1-line block ×4, first 2 shown]
	v_fmamk_f16 v79, v111, 0xb461, v99
	v_fmac_f16_e32 v76, 0xb461, v98
	v_fma_f16 v80, v111, 0xb461, -v99
	v_mul_f16_e32 v91, 0x3bf7, v121
	v_mul_f16_e32 v92, 0x3bf7, v123
	v_add_f16_e32 v74, v198, v74
	v_fmamk_f16 v198, v111, 0x39e9, v196
	v_mul_f16_e32 v200, 0xbbb2, v123
	v_add_f16_e32 v42, v79, v42
	v_add_f16_e32 v66, v76, v66
	;; [unrolled: 1-line block ×3, first 2 shown]
	v_fma_f16 v76, v107, 0x2de8, -v91
	v_fmamk_f16 v79, v106, 0x2de8, v92
	v_fmac_f16_e32 v91, 0x2de8, v107
	v_fma_f16 v80, v106, 0x2de8, -v92
	v_add_f16_e32 v73, v198, v73
	v_fma_f16 v198, v107, 0xb461, -v199
	v_fmamk_f16 v203, v106, 0xb461, v200
	v_add_f16_e32 v68, v76, v68
	v_add_f16_e32 v42, v79, v42
	;; [unrolled: 1-line block ×6, first 2 shown]
	v_pack_b32_f16 v42, v68, v42
	v_fmac_f16_e32 v22, 0x39e9, v20
	v_pack_b32_f16 v66, v66, v67
	v_fma_f16 v67, v21, 0x39e9, -v69
	v_fmac_f16_e32 v139, 0x2de8, v20
	v_fma_f16 v68, v21, 0x2de8, -v140
	v_pack_b32_f16 v168, v169, v168
	v_pack_b32_f16 v73, v74, v73
	ds_write2_b32 v65, v146, v147 offset0:34 offset1:51
	ds_write2_b32 v65, v170, v168 offset0:68 offset1:85
	;; [unrolled: 1-line block ×4, first 2 shown]
	v_add_f16_e32 v22, v22, v35
	v_add_f16_e32 v35, v67, v36
	v_add_f16_e32 v36, v139, v38
	v_add_f16_e32 v38, v68, v39
	v_fma_f16 v39, v21, 0xb8d2, -v141
	v_fma_f16 v42, v21, 0xbbdd, -v149
	v_fmac_f16_e32 v175, 0xb461, v20
	v_fmac_f16_e32 v174, 0x3722, v20
	;; [unrolled: 1-line block ×3, first 2 shown]
	v_add_f16_e32 v26, v39, v26
	v_add_f16_e32 v33, v42, v33
	v_fma_f16 v39, v21, 0xbacd, -v151
	v_fma_f16 v42, v21, 0xb461, -v176
	v_fmac_f16_e32 v148, 0xbbdd, v20
	v_fmac_f16_e32 v150, 0xbacd, v20
	v_fma_f16 v20, v21, 0x3722, -v177
	v_add_f16_e32 v21, v39, v23
	v_add_f16_e32 v23, v175, v27
	v_add_f16_e32 v27, v42, v31
	v_add_f16_e32 v31, v174, v34
	v_fma_f16 v34, v71, 0x3722, -v83
	v_fmac_f16_e32 v135, 0xb8d2, v70
	v_fma_f16 v39, v71, 0xb8d2, -v137
	v_add_f16_e32 v37, v150, v37
	v_add_f16_e32 v20, v20, v24
	;; [unrolled: 1-line block ×4, first 2 shown]
	v_fma_f16 v36, v71, 0xbbdd, -v136
	v_fmac_f16_e32 v154, 0x39e9, v70
	v_add_f16_e32 v35, v39, v38
	v_fma_f16 v38, v71, 0xb461, -v153
	v_add_f16_e32 v32, v148, v32
	v_add_f16_e32 v26, v36, v26
	;; [unrolled: 1-line block ×3, first 2 shown]
	v_fma_f16 v37, v71, 0x39e9, -v155
	v_add_f16_e32 v33, v38, v33
	v_fma_f16 v38, v71, 0x3b76, -v179
	v_fmac_f16_e32 v152, 0xb461, v70
	v_fmac_f16_e32 v72, 0x3722, v70
	v_add_f16_e32 v21, v37, v21
	v_fma_f16 v37, v78, 0x2de8, -v82
	v_add_f16_e32 v27, v38, v27
	v_fma_f16 v38, v78, 0xbbdd, -v133
	v_fmac_f16_e32 v178, 0x3b76, v70
	v_add_f16_e32 v32, v152, v32
	v_add_f16_e32 v24, v37, v24
	v_fma_f16 v37, v78, 0xb461, -v132
	v_add_f16_e32 v35, v38, v35
	v_fma_f16 v38, v78, 0x3b76, -v157
	v_fma_f16 v39, v71, 0x2de8, -v182
	v_fmac_f16_e32 v156, 0x3b76, v77
	v_add_f16_e32 v26, v37, v26
	v_fma_f16 v37, v78, 0x3722, -v159
	v_add_f16_e32 v33, v38, v33
	v_fma_f16 v38, v78, 0xbacd, -v173
	v_add_f16_e32 v22, v72, v22
	v_fmac_f16_e32 v181, 0x2de8, v70
	v_add_f16_e32 v21, v37, v21
	v_fma_f16 v37, v85, 0xb461, -v97
	v_add_f16_e32 v27, v38, v27
	v_fma_f16 v38, v85, 0xbacd, -v128
	v_add_f16_e32 v23, v178, v23
	v_fmac_f16_e32 v81, 0x2de8, v77
	v_add_f16_e32 v24, v37, v24
	v_fma_f16 v37, v85, 0x39e9, -v129
	v_add_f16_e32 v35, v38, v35
	v_fma_f16 v38, v85, 0x3722, -v161
	v_fmac_f16_e32 v172, 0xbacd, v77
	v_fmac_f16_e32 v131, 0xbbdd, v77
	v_add_f16_e32 v26, v37, v26
	v_fma_f16 v37, v85, 0xbbdd, -v163
	v_add_f16_e32 v33, v38, v33
	v_fma_f16 v38, v85, 0x2de8, -v186
	v_add_f16_e32 v20, v39, v20
	v_add_f16_e32 v32, v156, v32
	;; [unrolled: 1-line block ×3, first 2 shown]
	v_fma_f16 v37, v94, 0xb8d2, -v96
	v_add_f16_e32 v27, v38, v27
	v_fma_f16 v38, v94, 0xb461, -v124
	v_fma_f16 v39, v78, 0xb8d2, -v184
	v_fmac_f16_e32 v160, 0x3722, v84
	v_add_f16_e32 v24, v37, v24
	v_fma_f16 v37, v94, 0x3b76, -v125
	v_add_f16_e32 v35, v38, v35
	v_fma_f16 v38, v94, 0xbacd, -v165
	v_add_f16_e32 v25, v138, v25
	v_fmac_f16_e32 v134, 0xbbdd, v70
	v_add_f16_e32 v26, v37, v26
	v_fma_f16 v37, v94, 0x2de8, -v167
	v_add_f16_e32 v31, v181, v31
	v_add_f16_e32 v22, v81, v22
	v_fmac_f16_e32 v180, 0xb8d2, v77
	v_add_f16_e32 v23, v172, v23
	v_fmac_f16_e32 v86, 0xb461, v84
	v_fmac_f16_e32 v185, 0x2de8, v84
	v_add_f16_e32 v33, v38, v33
	v_fma_f16 v38, v94, 0x39e9, -v190
	v_add_f16_e32 v34, v131, v34
	v_fmac_f16_e32 v158, 0x3722, v77
	v_fmac_f16_e32 v126, 0xbacd, v84
	v_add_f16_e32 v20, v39, v20
	v_add_f16_e32 v32, v160, v32
	v_fma_f16 v39, v85, 0x3b76, -v187
	v_fmac_f16_e32 v164, 0xbacd, v93
	v_add_f16_e32 v25, v134, v25
	v_fmac_f16_e32 v130, 0xb461, v77
	v_add_f16_e32 v21, v37, v21
	v_fma_f16 v37, v111, 0xbacd, -v112
	v_add_f16_e32 v31, v180, v31
	v_add_f16_e32 v22, v86, v22
	v_fmac_f16_e32 v183, 0x3b76, v84
	v_add_f16_e32 v23, v185, v23
	v_fmac_f16_e32 v95, 0xb8d2, v93
	v_fmac_f16_e32 v189, 0x39e9, v93
	v_add_f16_e32 v27, v38, v27
	v_fma_f16 v38, v111, 0x3722, -v116
	v_add_f16_e32 v36, v158, v36
	v_add_f16_e32 v34, v126, v34
	v_fmac_f16_e32 v162, 0xbbdd, v84
	v_fmac_f16_e32 v122, 0xb461, v93
	v_add_f16_e32 v20, v39, v20
	v_add_f16_e32 v32, v164, v32
	v_fma_f16 v39, v94, 0xbbdd, -v188
	v_fmac_f16_e32 v142, 0xb8d2, v98
	v_add_f16_e32 v25, v130, v25
	v_fmac_f16_e32 v127, 0x39e9, v84
	v_add_f16_e32 v24, v37, v24
	v_fma_f16 v37, v111, 0x2de8, -v117
	v_add_f16_e32 v31, v183, v31
	v_add_f16_e32 v22, v95, v22
	v_fmac_f16_e32 v191, 0xbbdd, v93
	v_add_f16_e32 v23, v189, v23
	v_fmac_f16_e32 v101, 0xbacd, v98
	v_add_f16_e32 v35, v38, v35
	v_fma_f16 v38, v111, 0xb8d2, -v144
	v_fmac_f16_e32 v192, 0xbbdd, v98
	v_add_f16_e32 v36, v162, v36
	v_add_f16_e32 v34, v122, v34
	v_fmac_f16_e32 v166, 0x2de8, v93
	v_fmac_f16_e32 v105, 0x3722, v98
	v_add_f16_e32 v20, v39, v20
	v_add_f16_e32 v32, v142, v32
	v_fma_f16 v39, v111, 0x39e9, -v196
	v_fmac_f16_e32 v90, 0x39e9, v107
	v_add_f16_e32 v25, v127, v25
	v_fmac_f16_e32 v120, 0x3b76, v93
	v_add_f16_e32 v26, v37, v26
	v_fma_f16 v37, v111, 0x3b76, -v145
	v_add_f16_e32 v31, v191, v31
	v_add_f16_e32 v22, v101, v22
	;; [unrolled: 1-line block ×3, first 2 shown]
	v_fma_f16 v38, v111, 0xbbdd, -v194
	v_fmac_f16_e32 v195, 0x39e9, v98
	v_add_f16_e32 v23, v192, v23
	v_fmac_f16_e32 v108, 0xbbdd, v107
	v_fmac_f16_e32 v193, 0x3722, v107
	v_add_f16_e32 v36, v166, v36
	v_add_f16_e32 v34, v105, v34
	v_fmac_f16_e32 v143, 0x3b76, v98
	v_add_f16_e32 v20, v39, v20
	v_fmac_f16_e32 v102, 0x3b76, v107
	v_add_f16_e32 v71, v90, v32
	v_fma_f16 v32, v106, 0xb461, -v200
	v_add_f16_e32 v25, v120, v25
	v_fmac_f16_e32 v104, 0x2de8, v98
	v_add_f16_e32 v21, v37, v21
	v_fma_f16 v37, v106, 0x3b76, -v103
	v_add_f16_e32 v27, v38, v27
	v_add_f16_e32 v31, v195, v31
	;; [unrolled: 1-line block ×4, first 2 shown]
	v_fma_f16 v23, v106, 0x3722, -v197
	v_fmac_f16_e32 v199, 0xb461, v107
	v_add_f16_e32 v36, v143, v36
	v_add_f16_e32 v72, v102, v34
	v_fmac_f16_e32 v88, 0xb8d2, v107
	v_add_f16_e32 v20, v32, v20
	v_fma_f16 v32, v106, 0xb8d2, -v89
	v_fma_f16 v34, v106, 0x39e9, -v87
	v_add_f16_e32 v25, v104, v25
	v_add_f16_e32 v74, v37, v35
	v_fmac_f16_e32 v40, 0xbacd, v107
	v_fma_f16 v35, v106, 0xbacd, -v41
	v_add_f16_e32 v23, v23, v27
	v_add_f16_e32 v27, v199, v31
	v_fma_f16 v31, v106, 0xbbdd, -v113
	v_add_f16_e32 v69, v88, v36
	v_add_f16_e32 v70, v32, v21
	;; [unrolled: 1-line block ×6, first 2 shown]
	v_pack_b32_f16 v20, v27, v20
	v_pack_b32_f16 v21, v22, v23
	;; [unrolled: 1-line block ×7, first 2 shown]
	ds_write2_b32 v65, v20, v21 offset0:170 offset1:187
	ds_write2_b32 v65, v22, v23 offset0:204 offset1:221
	v_add_nc_u32_e32 v20, 0x1000, v43
	v_add_nc_u32_e32 v21, 0x1600, v43
	ds_write2_b32 v65, v24, v25 offset0:238 offset1:255
	ds_write_b32 v65, v26 offset:1088
	s_waitcnt lgkmcnt(0)
	s_barrier
	buffer_gl0_inv
	ds_read2_b32 v[33:34], v19 offset0:33 offset1:135
	ds_read2_b32 v[41:42], v17 offset0:66 offset1:168
	;; [unrolled: 1-line block ×5, first 2 shown]
	ds_read2_b32 v[31:32], v43 offset1:102
                                        ; implicit-def: $vgpr79
                                        ; implicit-def: $vgpr80
	s_and_saveexec_b32 s0, vcc_lo
	s_cbranch_execz .LBB0_3
; %bb.2:
	ds_read_b32 v69, v43 offset:816
	ds_read_b32 v71, v43 offset:1972
	;; [unrolled: 1-line block ×6, first 2 shown]
	s_waitcnt lgkmcnt(5)
	v_lshrrev_b32_e32 v70, 16, v69
	s_waitcnt lgkmcnt(4)
	v_lshrrev_b32_e32 v76, 16, v71
	;; [unrolled: 2-line block ×6, first 2 shown]
.LBB0_3:
	s_or_b32 exec_lo, exec_lo, s0
	v_mad_u64_u32 v[16:17], null, v58, 20, s[2:3]
	s_waitcnt lgkmcnt(4)
	v_lshrrev_b32_e32 v83, 16, v41
	s_waitcnt lgkmcnt(3)
	v_lshrrev_b32_e32 v84, 16, v39
	;; [unrolled: 2-line block ×4, first 2 shown]
	v_lshrrev_b32_e32 v88, 16, v34
	v_lshrrev_b32_e32 v89, 16, v42
	s_clause 0x1
	global_load_dwordx4 v[24:27], v[16:17], off offset:1088
	global_load_dword v68, v[16:17], off offset:1104
	v_add_co_u32 v16, s0, 0x7f8, v16
	v_add_co_ci_u32_e64 v17, s0, 0, v17, s0
	v_lshrrev_b32_e32 v90, 16, v40
	v_lshrrev_b32_e32 v91, 16, v38
	s_clause 0x1
	global_load_dwordx4 v[20:23], v[16:17], off offset:1088
	global_load_dword v67, v[16:17], off offset:1104
	v_add_nc_u32_e32 v16, 0xcc, v58
	v_add_nc_u32_e32 v17, 0xffffffab, v58
	v_lshrrev_b32_e32 v92, 16, v36
	s_waitcnt lgkmcnt(0)
	v_lshrrev_b32_e32 v87, 16, v32
	v_cndmask_b32_e32 v16, v17, v16, vcc_lo
	v_mul_i32_i24_e32 v17, 20, v16
	v_mul_hi_i32_i24_e32 v16, 20, v16
	v_add_co_u32 v81, s0, s2, v17
	v_add_co_ci_u32_e64 v82, s0, s3, v16, s0
	s_clause 0x1
	global_load_dwordx4 v[16:19], v[81:82], off offset:1088
	global_load_dword v66, v[81:82], off offset:1104
	v_lshrrev_b32_e32 v81, 16, v33
	v_lshrrev_b32_e32 v82, 16, v31
	s_waitcnt vmcnt(5)
	v_mul_f16_sdwa v93, v81, v24 dst_sel:DWORD dst_unused:UNUSED_PAD src0_sel:DWORD src1_sel:WORD_1
	v_mul_f16_sdwa v94, v33, v24 dst_sel:DWORD dst_unused:UNUSED_PAD src0_sel:DWORD src1_sel:WORD_1
	;; [unrolled: 1-line block ×8, first 2 shown]
	s_waitcnt vmcnt(4)
	v_mul_f16_sdwa v101, v86, v68 dst_sel:DWORD dst_unused:UNUSED_PAD src0_sel:DWORD src1_sel:WORD_1
	v_mul_f16_sdwa v102, v35, v68 dst_sel:DWORD dst_unused:UNUSED_PAD src0_sel:DWORD src1_sel:WORD_1
	v_fma_f16 v93, v33, v24, -v93
	v_fmac_f16_e32 v94, v81, v24
	v_fma_f16 v33, v41, v25, -v95
	v_fmac_f16_e32 v96, v83, v25
	;; [unrolled: 2-line block ×5, first 2 shown]
	s_waitcnt vmcnt(3)
	v_mul_f16_sdwa v35, v88, v20 dst_sel:DWORD dst_unused:UNUSED_PAD src0_sel:DWORD src1_sel:WORD_1
	v_mul_f16_sdwa v83, v34, v20 dst_sel:DWORD dst_unused:UNUSED_PAD src0_sel:DWORD src1_sel:WORD_1
	;; [unrolled: 1-line block ×8, first 2 shown]
	s_waitcnt vmcnt(2)
	v_mul_f16_sdwa v99, v92, v67 dst_sel:DWORD dst_unused:UNUSED_PAD src0_sel:DWORD src1_sel:WORD_1
	v_mul_f16_sdwa v101, v36, v67 dst_sel:DWORD dst_unused:UNUSED_PAD src0_sel:DWORD src1_sel:WORD_1
	v_fma_f16 v103, v34, v20, -v35
	v_fmac_f16_e32 v83, v88, v20
	v_fma_f16 v42, v42, v21, -v37
	v_fmac_f16_e32 v84, v89, v21
	;; [unrolled: 2-line block ×5, first 2 shown]
	v_add_f16_e32 v38, v31, v33
	v_add_f16_e32 v89, v33, v41
	v_sub_f16_e32 v90, v96, v100
	v_add_f16_e32 v91, v82, v96
	v_add_f16_e32 v92, v96, v100
	v_add_f16_e32 v96, v93, v39
	v_add_f16_e32 v99, v39, v81
	v_sub_f16_e32 v104, v98, v102
	v_add_f16_e32 v105, v94, v98
	v_add_f16_e32 v98, v98, v102
	s_waitcnt vmcnt(1)
	v_mul_f16_sdwa v106, v76, v16 dst_sel:DWORD dst_unused:UNUSED_PAD src0_sel:DWORD src1_sel:WORD_1
	v_mul_f16_sdwa v108, v74, v18 dst_sel:DWORD dst_unused:UNUSED_PAD src0_sel:DWORD src1_sel:WORD_1
	;; [unrolled: 1-line block ×3, first 2 shown]
	s_waitcnt vmcnt(0)
	v_mul_f16_sdwa v110, v80, v66 dst_sel:DWORD dst_unused:UNUSED_PAD src0_sel:DWORD src1_sel:WORD_1
	v_mul_f16_sdwa v34, v79, v66 dst_sel:DWORD dst_unused:UNUSED_PAD src0_sel:DWORD src1_sel:WORD_1
	v_sub_f16_e32 v95, v33, v41
	v_sub_f16_e32 v39, v39, v81
	v_mul_f16_sdwa v35, v71, v16 dst_sel:DWORD dst_unused:UNUSED_PAD src0_sel:DWORD src1_sel:WORD_1
	v_mul_f16_sdwa v107, v77, v17 dst_sel:DWORD dst_unused:UNUSED_PAD src0_sel:DWORD src1_sel:WORD_1
	;; [unrolled: 1-line block ×5, first 2 shown]
	v_add_f16_e32 v111, v38, v41
	v_fma_f16 v89, -0.5, v89, v31
	v_add_f16_e32 v91, v91, v100
	v_fmac_f16_e32 v82, -0.5, v92
	v_add_f16_e32 v81, v96, v81
	v_fmac_f16_e32 v93, -0.5, v99
	;; [unrolled: 2-line block ×3, first 2 shown]
	v_add_f16_e32 v96, v32, v42
	v_add_f16_e32 v98, v42, v85
	v_sub_f16_e32 v99, v84, v97
	v_add_f16_e32 v100, v87, v84
	v_add_f16_e32 v84, v84, v97
	;; [unrolled: 1-line block ×4, first 2 shown]
	v_sub_f16_e32 v113, v86, v101
	v_add_f16_e32 v114, v83, v86
	v_add_f16_e32 v86, v86, v101
	v_fma_f16 v31, v71, v16, -v106
	v_fma_f16 v71, v72, v18, -v108
	v_fmac_f16_e32 v36, v74, v18
	v_fma_f16 v41, v79, v66, -v110
	v_fmac_f16_e32 v34, v80, v66
	v_sub_f16_e32 v102, v42, v85
	v_sub_f16_e32 v40, v40, v88
	v_fmac_f16_e32 v35, v76, v16
	v_fma_f16 v42, v75, v17, -v107
	v_fmac_f16_e32 v37, v77, v17
	v_fma_f16 v38, v73, v19, -v109
	v_fmac_f16_e32 v33, v78, v19
	v_fmamk_f16 v106, v90, 0x3aee, v89
	v_fmac_f16_e32 v89, 0xbaee, v90
	v_fmamk_f16 v90, v95, 0xbaee, v82
	v_fmac_f16_e32 v82, 0x3aee, v95
	v_fmamk_f16 v78, v104, 0x3aee, v93
	v_fmac_f16_e32 v93, 0xbaee, v104
	v_fmamk_f16 v80, v39, 0xbaee, v94
	v_fmac_f16_e32 v94, 0x3aee, v39
	v_add_f16_e32 v39, v111, v81
	v_add_f16_e32 v76, v91, v92
	v_sub_f16_e32 v77, v111, v81
	v_sub_f16_e32 v79, v91, v92
	v_add_f16_e32 v81, v96, v85
	v_fmac_f16_e32 v32, -0.5, v98
	v_add_f16_e32 v85, v100, v97
	v_fmac_f16_e32 v87, -0.5, v84
	;; [unrolled: 2-line block ×4, first 2 shown]
	v_add_f16_e32 v92, v71, v41
	v_add_f16_e32 v95, v36, v34
	;; [unrolled: 1-line block ×4, first 2 shown]
	v_sub_f16_e32 v74, v36, v34
	v_sub_f16_e32 v75, v71, v41
	v_mul_f16_e32 v96, 0x3aee, v80
	v_mul_f16_e32 v97, -0.5, v93
	v_mul_f16_e32 v98, 0xbaee, v78
	v_mul_f16_e32 v100, -0.5, v94
	v_fmamk_f16 v101, v99, 0x3aee, v32
	v_fmac_f16_e32 v32, 0xbaee, v99
	v_fmamk_f16 v99, v102, 0xbaee, v87
	v_fmac_f16_e32 v87, 0x3aee, v102
	;; [unrolled: 2-line block ×4, first 2 shown]
	v_add_f16_e32 v40, v81, v84
	v_add_f16_e32 v105, v85, v88
	v_sub_f16_e32 v84, v81, v84
	v_sub_f16_e32 v85, v85, v88
	v_pack_b32_f16 v88, v77, v79
	v_fma_f16 v81, -0.5, v92, v31
	v_fma_f16 v79, -0.5, v95, v35
	v_pack_b32_f16 v39, v39, v76
	v_fma_f16 v76, -0.5, v86, v69
	v_fma_f16 v77, -0.5, v91, v70
	v_fmac_f16_e32 v96, 0.5, v78
	v_fmac_f16_e32 v97, 0x3aee, v94
	v_fmac_f16_e32 v98, 0.5, v80
	v_fmac_f16_e32 v100, 0xbaee, v93
	v_mul_f16_e32 v86, 0x3aee, v104
	v_mul_f16_e32 v91, -0.5, v103
	v_mul_f16_e32 v92, 0xbaee, v102
	ds_write_b32 v43, v88 offset:3468
	v_pack_b32_f16 v84, v84, v85
	v_fmamk_f16 v85, v74, 0xbaee, v81
	v_fmamk_f16 v88, v75, 0x3aee, v79
	v_mul_f16_e32 v93, -0.5, v83
	v_sub_f16_e32 v72, v37, v33
	v_sub_f16_e32 v73, v42, v38
	v_pack_b32_f16 v40, v40, v105
	v_add_f16_e32 v94, v106, v96
	v_add_f16_e32 v95, v89, v97
	;; [unrolled: 1-line block ×4, first 2 shown]
	v_sub_f16_e32 v89, v89, v97
	v_sub_f16_e32 v97, v82, v100
	v_fmac_f16_e32 v86, 0.5, v102
	v_fmac_f16_e32 v91, 0x3aee, v83
	v_fmac_f16_e32 v92, 0.5, v104
	v_mul_f16_e32 v82, -0.5, v85
	v_mul_f16_e32 v83, -0.5, v88
	v_fmac_f16_e32 v93, 0xbaee, v103
	v_sub_f16_e32 v96, v106, v96
	v_sub_f16_e32 v90, v90, v98
	v_fmamk_f16 v78, v72, 0xbaee, v76
	v_fmamk_f16 v80, v73, 0x3aee, v77
	v_add_f16_e32 v98, v101, v86
	v_add_f16_e32 v100, v32, v91
	;; [unrolled: 1-line block ×3, first 2 shown]
	v_sub_f16_e32 v32, v32, v91
	v_sub_f16_e32 v91, v99, v92
	v_pack_b32_f16 v92, v94, v105
	v_fmac_f16_e32 v82, 0x3aee, v88
	v_fmac_f16_e32 v83, 0xbaee, v85
	v_add_f16_e32 v103, v87, v93
	v_sub_f16_e32 v87, v87, v93
	v_pack_b32_f16 v93, v95, v107
	v_sub_f16_e32 v86, v101, v86
	v_pack_b32_f16 v90, v96, v90
	v_pack_b32_f16 v89, v89, v97
	ds_write_b32 v43, v92 offset:1156
	ds_write_b32 v43, v93 offset:2312
	;; [unrolled: 1-line block ×4, first 2 shown]
	ds_write2_b32 v43, v39, v40 offset1:102
	v_pack_b32_f16 v85, v98, v102
	v_sub_f16_e32 v39, v78, v82
	v_sub_f16_e32 v40, v80, v83
	v_pack_b32_f16 v88, v100, v103
	ds_write_b32 v43, v84 offset:3876
	v_pack_b32_f16 v84, v86, v91
	v_pack_b32_f16 v32, v32, v87
	ds_write_b32 v43, v85 offset:1564
	ds_write_b32 v43, v88 offset:2720
	;; [unrolled: 1-line block ×4, first 2 shown]
	s_and_saveexec_b32 s0, vcc_lo
	s_cbranch_execz .LBB0_5
; %bb.4:
	v_mul_f16_e32 v32, 0x3aee, v74
	v_mul_f16_e32 v74, 0x3aee, v75
	v_add_f16_e32 v37, v70, v37
	v_add_f16_e32 v35, v35, v36
	;; [unrolled: 1-line block ×5, first 2 shown]
	v_sub_f16_e32 v42, v79, v74
	v_mul_f16_e32 v72, 0x3aee, v72
	v_mul_f16_e32 v73, 0x3aee, v73
	;; [unrolled: 1-line block ×3, first 2 shown]
	v_add_f16_e32 v33, v37, v33
	v_add_f16_e32 v34, v35, v34
	;; [unrolled: 1-line block ×4, first 2 shown]
	v_mul_f16_e32 v37, 0x3aee, v42
	v_sub_f16_e32 v70, v77, v73
	v_fma_f16 v36, v42, 0.5, -v69
	v_add_f16_e32 v38, v72, v76
	v_add_f16_e32 v41, v33, v34
	;; [unrolled: 1-line block ×3, first 2 shown]
	v_fmac_f16_e32 v37, 0.5, v32
	v_sub_f16_e32 v42, v70, v36
	v_sub_f16_e32 v32, v33, v34
	v_add_f16_e32 v34, v70, v36
	v_pack_b32_f16 v36, v69, v41
	v_add_f16_e32 v41, v38, v37
	v_add_f16_e32 v33, v80, v83
	;; [unrolled: 1-line block ×3, first 2 shown]
	v_sub_f16_e32 v31, v35, v31
	v_sub_f16_e32 v35, v38, v37
	v_pack_b32_f16 v34, v41, v34
	ds_write_b32 v43, v36 offset:816
	v_pack_b32_f16 v33, v69, v33
	v_pack_b32_f16 v31, v31, v32
	;; [unrolled: 1-line block ×3, first 2 shown]
	v_perm_b32 v35, v40, v39, 0x5040100
	ds_write_b32 v43, v34 offset:1972
	ds_write_b32 v43, v33 offset:3128
	;; [unrolled: 1-line block ×5, first 2 shown]
.LBB0_5:
	s_or_b32 exec_lo, exec_lo, s0
	v_add_co_u32 v31, s0, 0x1b18, v63
	v_add_co_ci_u32_e64 v32, s0, 0, v64, s0
	s_waitcnt lgkmcnt(0)
	s_barrier
	buffer_gl0_inv
	s_clause 0x1
	global_load_dword v33, v[29:30], off offset:792
	global_load_dword v34, v[31:32], off offset:408
	v_add_co_u32 v29, s0, 0x2000, v63
	v_add_co_ci_u32_e64 v30, s0, 0, v64, s0
	s_clause 0x3
	global_load_dword v86, v[31:32], off offset:816
	global_load_dword v87, v[31:32], off offset:1224
	;; [unrolled: 1-line block ×4, first 2 shown]
	v_add_co_u32 v31, s0, 0x2800, v63
	v_add_co_ci_u32_e64 v32, s0, 0, v64, s0
	s_clause 0x5
	global_load_dword v91, v[29:30], off offset:1192
	global_load_dword v92, v[29:30], off offset:1600
	;; [unrolled: 1-line block ×6, first 2 shown]
	v_add_co_u32 v29, s0, 0x3000, v63
	v_add_co_ci_u32_e64 v30, s0, 0, v64, s0
	s_clause 0x4
	global_load_dword v97, v[31:32], off offset:1592
	global_load_dword v98, v[31:32], off offset:2000
	;; [unrolled: 1-line block ×5, first 2 shown]
	ds_read2_b32 v[29:30], v43 offset1:102
	v_add_nc_u32_e32 v71, 0x200, v43
	v_add_nc_u32_e32 v41, 0x400, v43
	;; [unrolled: 1-line block ×7, first 2 shown]
	v_mov_b32_e32 v83, 0xb964
	v_mov_b32_e32 v76, 0x39e9
	;; [unrolled: 1-line block ×11, first 2 shown]
	s_waitcnt lgkmcnt(0)
	v_lshrrev_b32_e32 v31, 16, v29
	v_lshrrev_b32_e32 v32, 16, v30
	s_waitcnt vmcnt(16)
	v_mul_f16_sdwa v35, v31, v33 dst_sel:DWORD dst_unused:UNUSED_PAD src0_sel:DWORD src1_sel:WORD_1
	v_mul_f16_sdwa v36, v29, v33 dst_sel:DWORD dst_unused:UNUSED_PAD src0_sel:DWORD src1_sel:WORD_1
	s_waitcnt vmcnt(15)
	v_mul_f16_sdwa v37, v32, v34 dst_sel:DWORD dst_unused:UNUSED_PAD src0_sel:DWORD src1_sel:WORD_1
	v_mul_f16_sdwa v38, v30, v34 dst_sel:DWORD dst_unused:UNUSED_PAD src0_sel:DWORD src1_sel:WORD_1
	v_fma_f16 v29, v29, v33, -v35
	v_fmac_f16_e32 v36, v31, v33
	v_fma_f16 v30, v30, v34, -v37
	v_fmac_f16_e32 v38, v32, v34
	v_pack_b32_f16 v29, v29, v36
	v_pack_b32_f16 v30, v30, v38
	ds_write2_b32 v43, v29, v30 offset1:102
	ds_read2_b32 v[29:30], v71 offset0:76 offset1:178
	ds_read2_b32 v[31:32], v41 offset0:152 offset1:254
	;; [unrolled: 1-line block ×7, first 2 shown]
	ds_read_b32 v102, v43 offset:6528
	s_waitcnt lgkmcnt(7)
	v_lshrrev_b32_e32 v103, 16, v29
	s_waitcnt vmcnt(14)
	v_mul_f16_sdwa v104, v29, v86 dst_sel:DWORD dst_unused:UNUSED_PAD src0_sel:DWORD src1_sel:WORD_1
	v_lshrrev_b32_e32 v105, 16, v30
	s_waitcnt vmcnt(13)
	v_mul_f16_sdwa v106, v30, v87 dst_sel:DWORD dst_unused:UNUSED_PAD src0_sel:DWORD src1_sel:WORD_1
	s_waitcnt lgkmcnt(6)
	v_lshrrev_b32_e32 v107, 16, v31
	s_waitcnt vmcnt(12)
	v_mul_f16_sdwa v108, v31, v88 dst_sel:DWORD dst_unused:UNUSED_PAD src0_sel:DWORD src1_sel:WORD_1
	v_lshrrev_b32_e32 v109, 16, v32
	s_waitcnt vmcnt(11)
	v_mul_f16_sdwa v110, v32, v90 dst_sel:DWORD dst_unused:UNUSED_PAD src0_sel:DWORD src1_sel:WORD_1
	;; [unrolled: 7-line block ×7, first 2 shown]
	s_waitcnt lgkmcnt(0)
	v_lshrrev_b32_e32 v131, 16, v102
	v_mul_f16_sdwa v133, v103, v86 dst_sel:DWORD dst_unused:UNUSED_PAD src0_sel:DWORD src1_sel:WORD_1
	v_fmac_f16_e32 v104, v103, v86
	v_mul_f16_sdwa v103, v105, v87 dst_sel:DWORD dst_unused:UNUSED_PAD src0_sel:DWORD src1_sel:WORD_1
	v_fmac_f16_e32 v106, v105, v87
	v_mul_f16_sdwa v105, v107, v88 dst_sel:DWORD dst_unused:UNUSED_PAD src0_sel:DWORD src1_sel:WORD_1
	v_fmac_f16_e32 v108, v107, v88
	v_mul_f16_sdwa v107, v109, v90 dst_sel:DWORD dst_unused:UNUSED_PAD src0_sel:DWORD src1_sel:WORD_1
	v_fmac_f16_e32 v110, v109, v90
	v_mul_f16_sdwa v109, v111, v91 dst_sel:DWORD dst_unused:UNUSED_PAD src0_sel:DWORD src1_sel:WORD_1
	v_fmac_f16_e32 v112, v111, v91
	v_mul_f16_sdwa v111, v113, v92 dst_sel:DWORD dst_unused:UNUSED_PAD src0_sel:DWORD src1_sel:WORD_1
	v_fmac_f16_e32 v114, v113, v92
	v_mul_f16_sdwa v113, v115, v93 dst_sel:DWORD dst_unused:UNUSED_PAD src0_sel:DWORD src1_sel:WORD_1
	v_fmac_f16_e32 v116, v115, v93
	v_mul_f16_sdwa v115, v117, v94 dst_sel:DWORD dst_unused:UNUSED_PAD src0_sel:DWORD src1_sel:WORD_1
	v_fmac_f16_e32 v118, v117, v94
	v_mul_f16_sdwa v117, v119, v95 dst_sel:DWORD dst_unused:UNUSED_PAD src0_sel:DWORD src1_sel:WORD_1
	v_fmac_f16_e32 v120, v119, v95
	v_mul_f16_sdwa v119, v121, v96 dst_sel:DWORD dst_unused:UNUSED_PAD src0_sel:DWORD src1_sel:WORD_1
	s_waitcnt vmcnt(0)
	v_mul_f16_sdwa v132, v102, v101 dst_sel:DWORD dst_unused:UNUSED_PAD src0_sel:DWORD src1_sel:WORD_1
	v_fmac_f16_e32 v122, v121, v96
	v_mul_f16_sdwa v121, v123, v97 dst_sel:DWORD dst_unused:UNUSED_PAD src0_sel:DWORD src1_sel:WORD_1
	v_fmac_f16_e32 v124, v123, v97
	v_mul_f16_sdwa v123, v125, v98 dst_sel:DWORD dst_unused:UNUSED_PAD src0_sel:DWORD src1_sel:WORD_1
	v_fmac_f16_e32 v126, v125, v98
	v_mul_f16_sdwa v125, v127, v99 dst_sel:DWORD dst_unused:UNUSED_PAD src0_sel:DWORD src1_sel:WORD_1
	v_fmac_f16_e32 v128, v127, v99
	v_mul_f16_sdwa v127, v129, v100 dst_sel:DWORD dst_unused:UNUSED_PAD src0_sel:DWORD src1_sel:WORD_1
	v_fmac_f16_e32 v130, v129, v100
	v_mul_f16_sdwa v129, v131, v101 dst_sel:DWORD dst_unused:UNUSED_PAD src0_sel:DWORD src1_sel:WORD_1
	v_fma_f16 v29, v29, v86, -v133
	v_fma_f16 v30, v30, v87, -v103
	;; [unrolled: 1-line block ×10, first 2 shown]
	v_fmac_f16_e32 v132, v131, v101
	v_fma_f16 v81, v81, v97, -v121
	v_fma_f16 v82, v82, v98, -v123
	;; [unrolled: 1-line block ×5, first 2 shown]
	v_pack_b32_f16 v29, v29, v104
	v_pack_b32_f16 v30, v30, v106
	;; [unrolled: 1-line block ×15, first 2 shown]
	ds_write2_b32 v71, v29, v30 offset0:76 offset1:178
	ds_write2_b32 v41, v31, v32 offset0:152 offset1:254
	;; [unrolled: 1-line block ×7, first 2 shown]
	ds_write_b32 v43, v86 offset:6528
	s_waitcnt lgkmcnt(0)
	s_barrier
	buffer_gl0_inv
	ds_read2_b32 v[94:95], v43 offset1:102
	ds_read_b32 v93, v43 offset:6528
	ds_read2_b32 v[96:97], v64 offset0:148 offset1:250
	ds_read2_b32 v[98:99], v71 offset0:76 offset1:178
	;; [unrolled: 1-line block ×7, first 2 shown]
	v_mov_b32_e32 v85, 0xb1e1
	v_mov_b32_e32 v81, 0xbacd
	;; [unrolled: 1-line block ×11, first 2 shown]
	s_waitcnt lgkmcnt(0)
	s_barrier
	buffer_gl0_inv
	v_pk_add_f16 v101, v94, v95
	v_pk_add_f16 v102, v93, v95
	v_pk_add_f16 v95, v95, v93 neg_lo:[0,1] neg_hi:[0,1]
	v_pk_add_f16 v103, v97, v98
	v_pk_add_f16 v104, v98, v97 neg_lo:[0,1] neg_hi:[0,1]
	v_pk_add_f16 v98, v101, v98
	v_pk_add_f16 v107, v36, v37
	v_pk_add_f16 v108, v37, v36 neg_lo:[0,1] neg_hi:[0,1]
	v_pk_mul_f16 v101, 0xb5c8, v95 op_sel_hi:[0,1]
	v_mul_f16_sdwa v109, v95, v83 dst_sel:DWORD dst_unused:UNUSED_PAD src0_sel:WORD_1 src1_sel:DWORD
	v_pk_add_f16 v98, v98, v99
	v_mul_f16_sdwa v110, v102, v76 dst_sel:DWORD dst_unused:UNUSED_PAD src0_sel:WORD_1 src1_sel:DWORD
	v_mul_f16_sdwa v111, v95, v89 dst_sel:DWORD dst_unused:UNUSED_PAD src0_sel:WORD_1 src1_sel:DWORD
	;; [unrolled: 1-line block ×4, first 2 shown]
	v_pk_add_f16 v37, v98, v37
	v_mul_f16_sdwa v115, v95, v75 dst_sel:DWORD dst_unused:UNUSED_PAD src0_sel:WORD_1 src1_sel:DWORD
	v_mul_f16_sdwa v117, v95, v78 dst_sel:DWORD dst_unused:UNUSED_PAD src0_sel:WORD_1 src1_sel:DWORD
	;; [unrolled: 1-line block ×4, first 2 shown]
	v_pk_add_f16 v37, v37, v38
	v_pk_add_f16 v105, v96, v99
	v_pk_add_f16 v106, v99, v96 neg_lo:[0,1] neg_hi:[0,1]
	v_mul_f16_sdwa v114, v102, v72 dst_sel:DWORD dst_unused:UNUSED_PAD src0_sel:WORD_1 src1_sel:DWORD
	v_mul_f16_sdwa v116, v102, v74 dst_sel:DWORD dst_unused:UNUSED_PAD src0_sel:WORD_1 src1_sel:DWORD
	v_pk_add_f16 v37, v37, v31
	v_mul_f16_sdwa v118, v102, v77 dst_sel:DWORD dst_unused:UNUSED_PAD src0_sel:WORD_1 src1_sel:DWORD
	v_mul_f16_sdwa v120, v102, v81 dst_sel:DWORD dst_unused:UNUSED_PAD src0_sel:WORD_1 src1_sel:DWORD
	;; [unrolled: 1-line block ×3, first 2 shown]
	v_pk_mul_f16 v123, 0xb964, v104 op_sel_hi:[0,1]
	v_pk_add_f16 v37, v37, v32
	v_mul_f16_sdwa v124, v104, v80 dst_sel:DWORD dst_unused:UNUSED_PAD src0_sel:WORD_1 src1_sel:DWORD
	v_mul_f16_sdwa v125, v103, v72 dst_sel:DWORD dst_unused:UNUSED_PAD src0_sel:WORD_1 src1_sel:DWORD
	;; [unrolled: 1-line block ×4, first 2 shown]
	v_pk_add_f16 v37, v37, v29
	v_mul_f16_sdwa v128, v104, v85 dst_sel:DWORD dst_unused:UNUSED_PAD src0_sel:WORD_1 src1_sel:DWORD
	v_mul_f16_sdwa v130, v104, v92 dst_sel:DWORD dst_unused:UNUSED_PAD src0_sel:WORD_1 src1_sel:DWORD
	;; [unrolled: 1-line block ×4, first 2 shown]
	v_pk_add_f16 v37, v37, v30
	v_mul_f16_sdwa v136, v104, v87 dst_sel:DWORD dst_unused:UNUSED_PAD src0_sel:WORD_1 src1_sel:DWORD
	v_pk_fma_f16 v99, 0x3b76, v102, v101 op_sel:[0,0,1] op_sel_hi:[0,1,0]
	v_pk_fma_f16 v101, 0x3b76, v102, v101 op_sel:[0,0,1] op_sel_hi:[0,1,0] neg_lo:[0,0,1] neg_hi:[0,0,1]
	v_fmamk_f16 v158, v102, 0x39e9, v109
	v_pk_add_f16 v37, v37, v33
	v_fmamk_f16 v159, v95, 0x3964, v110
	v_fma_f16 v109, v102, 0x39e9, -v109
	v_fmac_f16_e32 v110, 0xb964, v95
	v_fmamk_f16 v160, v102, 0x3722, v111
	v_pk_add_f16 v37, v37, v34
	v_fmamk_f16 v161, v95, 0x3b29, v112
	v_fma_f16 v111, v102, 0x3722, -v111
	v_fmac_f16_e32 v112, 0xbb29, v95
	v_fmamk_f16 v162, v102, 0x2de8, v113
	v_pk_add_f16 v37, v37, v35
	v_fma_f16 v113, v102, 0x2de8, -v113
	v_fmamk_f16 v164, v102, 0xb461, v115
	v_fma_f16 v115, v102, 0xb461, -v115
	v_fmamk_f16 v166, v102, 0xb8d2, v117
	v_fma_f16 v117, v102, 0xb8d2, -v117
	v_fmamk_f16 v168, v102, 0xbacd, v119
	v_fma_f16 v119, v102, 0xbacd, -v119
	v_fmamk_f16 v170, v102, 0xbbdd, v121
	v_fma_f16 v102, v102, 0xbbdd, -v121
	v_pk_add_f16 v36, v37, v36
	v_mul_f16_sdwa v129, v103, v84 dst_sel:DWORD dst_unused:UNUSED_PAD src0_sel:WORD_1 src1_sel:DWORD
	v_mul_f16_sdwa v131, v103, v81 dst_sel:DWORD dst_unused:UNUSED_PAD src0_sel:WORD_1 src1_sel:DWORD
	;; [unrolled: 1-line block ×5, first 2 shown]
	v_pk_mul_f16 v138, 0xbb29, v106 op_sel_hi:[0,1]
	v_mul_f16_sdwa v139, v106, v78 dst_sel:DWORD dst_unused:UNUSED_PAD src0_sel:WORD_1 src1_sel:DWORD
	v_mul_f16_sdwa v140, v105, v77 dst_sel:DWORD dst_unused:UNUSED_PAD src0_sel:WORD_1 src1_sel:DWORD
	;; [unrolled: 1-line block ×9, first 2 shown]
	v_fmamk_f16 v163, v95, 0x3bf7, v114
	v_fmac_f16_e32 v114, 0xbbf7, v95
	v_fmamk_f16 v165, v95, 0x3bb2, v116
	v_fmac_f16_e32 v116, 0xbbb2, v95
	;; [unrolled: 2-line block ×5, first 2 shown]
	v_pk_fma_f16 v95, 0x39e9, v103, v123 op_sel:[0,0,1] op_sel_hi:[0,1,0]
	v_pk_fma_f16 v121, 0x39e9, v103, v123 op_sel:[0,0,1] op_sel_hi:[0,1,0] neg_lo:[0,0,1] neg_hi:[0,0,1]
	v_fmamk_f16 v123, v103, 0x2de8, v124
	v_fmamk_f16 v172, v104, 0x3bf7, v125
	v_fma_f16 v124, v103, 0x2de8, -v124
	v_fmac_f16_e32 v125, 0xbbf7, v104
	v_fmamk_f16 v173, v103, 0xb8d2, v126
	v_fmamk_f16 v174, v104, 0x3a62, v127
	v_fma_f16 v126, v103, 0xb8d2, -v126
	v_fmac_f16_e32 v127, 0xba62, v104
	v_fmamk_f16 v175, v103, 0xbbdd, v128
	v_fma_f16 v128, v103, 0xbbdd, -v128
	v_fmamk_f16 v177, v103, 0xbacd, v130
	v_fma_f16 v130, v103, 0xbacd, -v130
	;; [unrolled: 2-line block ×5, first 2 shown]
	v_bfi_b32 v98, 0xffff, v99, v101
	v_pk_add_f16 v101, v94, v101
	v_pk_add_f16 v99, v94, v99
	v_add_f16_e32 v158, v94, v158
	v_add_f16_sdwa v159, v94, v159 dst_sel:DWORD dst_unused:UNUSED_PAD src0_sel:WORD_1 src1_sel:DWORD
	v_add_f16_e32 v109, v94, v109
	v_add_f16_sdwa v110, v94, v110 dst_sel:DWORD dst_unused:UNUSED_PAD src0_sel:WORD_1 src1_sel:DWORD
	;; [unrolled: 2-line block ×4, first 2 shown]
	v_add_f16_e32 v162, v94, v162
	v_add_f16_e32 v102, v94, v102
	v_pk_add_f16 v36, v36, v96
	v_mul_f16_sdwa v143, v105, v74 dst_sel:DWORD dst_unused:UNUSED_PAD src0_sel:WORD_1 src1_sel:DWORD
	v_mul_f16_sdwa v145, v105, v76 dst_sel:DWORD dst_unused:UNUSED_PAD src0_sel:WORD_1 src1_sel:DWORD
	;; [unrolled: 1-line block ×5, first 2 shown]
	v_pk_mul_f16 v152, 0xbbf7, v108 op_sel_hi:[0,1]
	v_mul_f16_sdwa v153, v108, v85 dst_sel:DWORD dst_unused:UNUSED_PAD src0_sel:WORD_1 src1_sel:DWORD
	v_mul_f16_sdwa v154, v107, v84 dst_sel:DWORD dst_unused:UNUSED_PAD src0_sel:WORD_1 src1_sel:DWORD
	;; [unrolled: 1-line block ×5, first 2 shown]
	v_fmamk_f16 v176, v104, 0x31e1, v129
	v_fmac_f16_e32 v129, 0xb1e1, v104
	v_fmamk_f16 v178, v104, 0xb836, v131
	v_fmac_f16_e32 v131, 0x3836, v104
	v_fmamk_f16 v180, v104, 0xbbb2, v133
	v_fmac_f16_e32 v133, 0x3bb2, v104
	v_fmamk_f16 v182, v104, 0xbb29, v135
	v_fmac_f16_e32 v135, 0x3b29, v104
	v_fmamk_f16 v184, v104, 0xb5c8, v137
	v_fmac_f16_e32 v137, 0x35c8, v104
	v_pk_fma_f16 v104, 0x3722, v105, v138 op_sel:[0,0,1] op_sel_hi:[0,1,0]
	v_pk_fma_f16 v136, 0x3722, v105, v138 op_sel:[0,0,1] op_sel_hi:[0,1,0] neg_lo:[0,0,1] neg_hi:[0,0,1]
	v_fmamk_f16 v138, v105, 0xb8d2, v139
	v_fmamk_f16 v185, v106, 0x3a62, v140
	v_fma_f16 v139, v105, 0xb8d2, -v139
	v_fmac_f16_e32 v140, 0xba62, v106
	v_fmamk_f16 v186, v105, 0xbbdd, v100
	v_fmamk_f16 v187, v106, 0xb1e1, v141
	v_fma_f16 v100, v105, 0xbbdd, -v100
	v_fmac_f16_e32 v141, 0x31e1, v106
	v_fmamk_f16 v188, v105, 0xb461, v142
	v_fma_f16 v142, v105, 0xb461, -v142
	v_fmamk_f16 v190, v105, 0x39e9, v144
	v_fma_f16 v144, v105, 0x39e9, -v144
	;; [unrolled: 2-line block ×5, first 2 shown]
	v_add_f16_sdwa v163, v94, v163 dst_sel:DWORD dst_unused:UNUSED_PAD src0_sel:WORD_1 src1_sel:DWORD
	v_add_f16_e32 v113, v94, v113
	v_add_f16_sdwa v114, v94, v114 dst_sel:DWORD dst_unused:UNUSED_PAD src0_sel:WORD_1 src1_sel:DWORD
	v_add_f16_e32 v164, v94, v164
	;; [unrolled: 2-line block ×8, first 2 shown]
	v_add_f16_sdwa v171, v94, v171 dst_sel:DWORD dst_unused:UNUSED_PAD src0_sel:WORD_1 src1_sel:DWORD
	v_add_f16_sdwa v122, v94, v122 dst_sel:DWORD dst_unused:UNUSED_PAD src0_sel:WORD_1 src1_sel:DWORD
	v_bfi_b32 v201, 0xffff, v95, v121
	v_pk_add_f16 v94, v94, v98
	v_pk_add_f16 v98, v121, v101
	;; [unrolled: 1-line block ×3, first 2 shown]
	v_add_f16_e32 v99, v123, v158
	v_add_f16_e32 v101, v172, v159
	;; [unrolled: 1-line block ×10, first 2 shown]
	v_pk_add_f16 v36, v36, v97
	v_fmamk_f16 v189, v106, 0xbbb2, v143
	v_fmac_f16_e32 v143, 0x3bb2, v106
	v_fmamk_f16 v191, v106, 0xb964, v145
	v_fmac_f16_e32 v145, 0x3964, v106
	;; [unrolled: 2-line block ×5, first 2 shown]
	v_pk_fma_f16 v106, 0x2de8, v107, v152 op_sel:[0,0,1] op_sel_hi:[0,1,0]
	v_pk_fma_f16 v150, 0x2de8, v107, v152 op_sel:[0,0,1] op_sel_hi:[0,1,0] neg_lo:[0,0,1] neg_hi:[0,0,1]
	v_fmamk_f16 v152, v107, 0xbbdd, v153
	v_fmamk_f16 v198, v108, 0x31e1, v154
	v_fma_f16 v153, v107, 0xbbdd, -v153
	v_fmac_f16_e32 v154, 0xb1e1, v108
	v_fmamk_f16 v199, v107, 0xb461, v155
	v_fmamk_f16 v200, v108, 0xbbb2, v156
	v_fmac_f16_e32 v156, 0x3bb2, v108
	v_bfi_b32 v202, 0xffff, v104, v136
	v_add_f16_e32 v125, v176, v163
	v_add_f16_e32 v113, v128, v113
	v_add_f16_e32 v114, v129, v114
	v_pk_add_f16 v98, v136, v98
	v_pk_add_f16 v95, v104, v95
	v_add_f16_e32 v99, v138, v99
	v_add_f16_e32 v101, v185, v101
	;; [unrolled: 1-line block ×10, first 2 shown]
	v_pk_add_f16 v36, v36, v93
	v_fmamk_f16 v93, v107, 0x3b76, v157
	v_mul_f16_sdwa v105, v107, v86 dst_sel:DWORD dst_unused:UNUSED_PAD src0_sel:WORD_1 src1_sel:DWORD
	v_bfi_b32 v203, 0xffff, v106, v150
	v_add_f16_e32 v126, v177, v164
	v_add_f16_e32 v127, v178, v165
	;; [unrolled: 1-line block ×6, first 2 shown]
	v_pk_add_f16 v96, v150, v98
	v_pk_add_f16 v95, v106, v95
	v_add_f16_e32 v98, v152, v99
	v_add_f16_e32 v99, v198, v101
	;; [unrolled: 1-line block ×8, first 2 shown]
	v_fmamk_f16 v110, v108, 0xb5c8, v105
	v_mul_f16_sdwa v111, v108, v89 dst_sel:DWORD dst_unused:UNUSED_PAD src0_sel:WORD_1 src1_sel:DWORD
	v_fma_f16 v112, v107, 0x3b76, -v157
	v_mul_f16_sdwa v121, v107, v73 dst_sel:DWORD dst_unused:UNUSED_PAD src0_sel:WORD_1 src1_sel:DWORD
	v_fmac_f16_e32 v105, 0x35c8, v108
	v_add_f16_e32 v116, v131, v116
	v_add_f16_e32 v128, v179, v166
	v_add_f16_e32 v123, v190, v126
	v_add_f16_e32 v124, v191, v127
	v_add_f16_e32 v110, v110, v122
	v_fmamk_f16 v122, v107, 0x3722, v111
	v_add_f16_e32 v112, v112, v113
	v_fmamk_f16 v113, v108, 0x3b29, v121
	v_add_f16_e32 v105, v105, v114
	v_mul_f16_sdwa v114, v108, v79 dst_sel:DWORD dst_unused:UNUSED_PAD src0_sel:WORD_1 src1_sel:DWORD
	v_add_f16_e32 v116, v145, v116
	v_add_f16_e32 v125, v192, v128
	v_add_f16_e32 v122, v122, v123
	v_add_f16_e32 v113, v113, v124
	v_fmac_f16_e32 v121, 0xbb29, v108
	v_fmamk_f16 v123, v107, 0xbacd, v114
	v_mov_b32_e32 v124, 0x3a62
	v_add_f16_e32 v115, v130, v115
	v_add_f16_e32 v117, v132, v117
	;; [unrolled: 1-line block ×6, first 2 shown]
	v_mul_f16_sdwa v123, v108, v124 dst_sel:DWORD dst_unused:UNUSED_PAD src0_sel:WORD_1 src1_sel:DWORD
	v_add_f16_e32 v115, v144, v115
	v_add_f16_e32 v117, v146, v117
	;; [unrolled: 1-line block ×4, first 2 shown]
	v_fma_f16 v111, v107, 0x3722, -v111
	v_fma_f16 v114, v107, 0xbacd, -v114
	v_fmamk_f16 v131, v107, 0xb8d2, v123
	v_add_f16_e32 v129, v180, v167
	v_add_f16_e32 v118, v133, v118
	;; [unrolled: 1-line block ×5, first 2 shown]
	v_mul_f16_sdwa v115, v107, v81 dst_sel:DWORD dst_unused:UNUSED_PAD src0_sel:WORD_1 src1_sel:DWORD
	v_mul_f16_sdwa v125, v107, v77 dst_sel:DWORD dst_unused:UNUSED_PAD src0_sel:WORD_1 src1_sel:DWORD
	v_add_f16_e32 v114, v114, v117
	v_add_f16_e32 v117, v131, v127
	v_pk_add_f16 v127, v38, v35 neg_lo:[0,1] neg_hi:[0,1]
	v_add_f16_e32 v120, v135, v120
	v_pk_add_f16 v94, v201, v94
	v_add_f16_e32 v126, v193, v129
	v_add_f16_e32 v118, v147, v118
	;; [unrolled: 1-line block ×4, first 2 shown]
	v_fmamk_f16 v130, v108, 0x3836, v115
	v_fmac_f16_e32 v115, 0xb836, v108
	v_fmamk_f16 v132, v108, 0xba62, v125
	v_fma_f16 v123, v107, 0xb8d2, -v123
	v_pk_add_f16 v35, v35, v38
	v_pk_mul_f16 v38, 0xbbb2, v127 op_sel_hi:[0,1]
	v_add_f16_e32 v120, v149, v120
	v_pk_add_f16 v94, v202, v94
	v_add_f16_e32 v126, v130, v126
	v_add_f16_e32 v115, v115, v118
	;; [unrolled: 1-line block ×3, first 2 shown]
	v_fmac_f16_e32 v125, 0x3a62, v108
	v_mul_f16_sdwa v128, v108, v88 dst_sel:DWORD dst_unused:UNUSED_PAD src0_sel:WORD_1 src1_sel:DWORD
	v_add_f16_e32 v119, v123, v119
	v_mul_f16_sdwa v123, v107, v76 dst_sel:DWORD dst_unused:UNUSED_PAD src0_sel:WORD_1 src1_sel:DWORD
	v_pk_fma_f16 v130, 0xb461, v35, v38 op_sel:[0,0,1] op_sel_hi:[0,1,0]
	v_pk_fma_f16 v38, 0xb461, v35, v38 op_sel:[0,0,1] op_sel_hi:[0,1,0] neg_lo:[0,0,1] neg_hi:[0,0,1]
	v_fma_f16 v155, v107, 0xb461, -v155
	v_pk_add_f16 v94, v203, v94
	v_add_f16_e32 v120, v125, v120
	v_fmamk_f16 v125, v107, 0x39e9, v128
	v_fmamk_f16 v131, v108, 0xb964, v123
	v_fma_f16 v107, v107, 0x39e9, -v128
	v_fmac_f16_e32 v123, 0x3964, v108
	v_bfi_b32 v108, 0xffff, v130, v38
	v_mul_f16_sdwa v92, v127, v92 dst_sel:DWORD dst_unused:UNUSED_PAD src0_sel:WORD_1 src1_sel:DWORD
	v_add_f16_e32 v103, v151, v103
	v_add_f16_e32 v102, v107, v102
	v_mul_f16_sdwa v107, v35, v81 dst_sel:DWORD dst_unused:UNUSED_PAD src0_sel:WORD_1 src1_sel:DWORD
	v_pk_add_f16 v94, v108, v94
	v_pk_add_f16 v38, v38, v96
	v_fmamk_f16 v96, v35, 0xbacd, v92
	v_mul_f16_sdwa v108, v127, v88 dst_sel:DWORD dst_unused:UNUSED_PAD src0_sel:WORD_1 src1_sel:DWORD
	v_fma_f16 v92, v35, 0xbacd, -v92
	v_add_f16_e32 v103, v123, v103
	v_fmamk_f16 v123, v127, 0xb836, v107
	v_add_f16_e32 v96, v96, v98
	v_fmac_f16_e32 v107, 0x3836, v127
	v_fmamk_f16 v98, v35, 0x39e9, v108
	v_add_f16_e32 v92, v92, v97
	v_mul_f16_sdwa v97, v35, v76 dst_sel:DWORD dst_unused:UNUSED_PAD src0_sel:WORD_1 src1_sel:DWORD
	v_add_f16_e32 v100, v155, v100
	v_add_f16_e32 v101, v107, v101
	;; [unrolled: 1-line block ×3, first 2 shown]
	v_mul_f16_sdwa v89, v127, v89 dst_sel:DWORD dst_unused:UNUSED_PAD src0_sel:WORD_1 src1_sel:DWORD
	v_mul_f16_sdwa v104, v35, v73 dst_sel:DWORD dst_unused:UNUSED_PAD src0_sel:WORD_1 src1_sel:DWORD
	v_fmamk_f16 v107, v127, 0xb964, v97
	v_fma_f16 v108, v35, 0x39e9, -v108
	v_fmac_f16_e32 v97, 0x3964, v127
	v_add_f16_e32 v99, v123, v99
	v_fmamk_f16 v123, v35, 0x3722, v89
	v_fmamk_f16 v128, v127, 0x3b29, v104
	v_add_f16_e32 v100, v108, v100
	v_add_f16_e32 v97, v97, v109
	v_fma_f16 v89, v35, 0x3722, -v89
	v_mul_f16_sdwa v108, v127, v85 dst_sel:DWORD dst_unused:UNUSED_PAD src0_sel:WORD_1 src1_sel:DWORD
	v_fmac_f16_e32 v104, 0xbb29, v127
	v_mov_b32_e32 v109, 0x3bf7
	v_add_f16_e32 v106, v107, v106
	v_add_f16_e32 v107, v128, v110
	v_mul_f16_sdwa v110, v35, v84 dst_sel:DWORD dst_unused:UNUSED_PAD src0_sel:WORD_1 src1_sel:DWORD
	v_add_f16_e32 v89, v89, v112
	v_fmamk_f16 v112, v35, 0xbbdd, v108
	v_add_f16_e32 v104, v104, v105
	v_mul_f16_sdwa v105, v127, v109 dst_sel:DWORD dst_unused:UNUSED_PAD src0_sel:WORD_1 src1_sel:DWORD
	v_add_f16_e32 v93, v123, v93
	v_fmamk_f16 v123, v127, 0x31e1, v110
	v_fma_f16 v108, v35, 0xbbdd, -v108
	v_add_f16_e32 v112, v112, v122
	v_fmac_f16_e32 v110, 0xb1e1, v127
	v_fmamk_f16 v122, v35, 0x2de8, v105
	v_add_f16_e32 v125, v125, v129
	v_add_f16_e32 v108, v108, v111
	v_mul_f16_sdwa v111, v35, v72 dst_sel:DWORD dst_unused:UNUSED_PAD src0_sel:WORD_1 src1_sel:DWORD
	v_add_f16_e32 v110, v110, v116
	v_add_f16_e32 v116, v122, v121
	v_mul_f16_sdwa v121, v127, v90 dst_sel:DWORD dst_unused:UNUSED_PAD src0_sel:WORD_1 src1_sel:DWORD
	v_mul_f16_sdwa v122, v35, v86 dst_sel:DWORD dst_unused:UNUSED_PAD src0_sel:WORD_1 src1_sel:DWORD
	v_add_f16_e32 v113, v123, v113
	v_fmamk_f16 v123, v127, 0xbbf7, v111
	v_fma_f16 v105, v35, 0x2de8, -v105
	v_fmac_f16_e32 v111, 0x3bf7, v127
	v_fmamk_f16 v128, v35, 0x3b76, v121
	v_fmamk_f16 v129, v127, 0x35c8, v122
	v_fmac_f16_e32 v122, 0xb5c8, v127
	v_add_f16_e32 v105, v105, v114
	v_add_f16_e32 v111, v111, v115
	;; [unrolled: 1-line block ×4, first 2 shown]
	v_pk_add_f16 v117, v31, v34 neg_lo:[0,1] neg_hi:[0,1]
	v_fma_f16 v118, v35, 0x3b76, -v121
	v_mul_f16_sdwa v121, v127, v78 dst_sel:DWORD dst_unused:UNUSED_PAD src0_sel:WORD_1 src1_sel:DWORD
	v_pk_add_f16 v31, v34, v31
	v_add_f16_e32 v123, v123, v126
	v_pk_mul_f16 v34, 0xba62, v117 op_sel_hi:[0,1]
	v_add_f16_e32 v118, v118, v119
	v_mul_f16_sdwa v119, v35, v77 dst_sel:DWORD dst_unused:UNUSED_PAD src0_sel:WORD_1 src1_sel:DWORD
	v_fmamk_f16 v126, v35, 0xb8d2, v121
	v_add_f16_e32 v120, v122, v120
	v_pk_fma_f16 v122, 0xb8d2, v31, v34 op_sel:[0,0,1] op_sel_hi:[0,1,0]
	v_pk_fma_f16 v34, 0xb8d2, v31, v34 op_sel:[0,0,1] op_sel_hi:[0,1,0] neg_lo:[0,0,1] neg_hi:[0,0,1]
	v_fmamk_f16 v128, v127, 0x3a62, v119
	v_fma_f16 v35, v35, 0xb8d2, -v121
	v_fmac_f16_e32 v119, 0xba62, v127
	v_pk_add_f16 v95, v130, v95
	v_bfi_b32 v121, 0xffff, v122, v34
	v_mul_f16_sdwa v91, v117, v91 dst_sel:DWORD dst_unused:UNUSED_PAD src0_sel:WORD_1 src1_sel:DWORD
	v_add_f16_e32 v35, v35, v102
	v_add_f16_e32 v102, v119, v103
	v_mul_f16_sdwa v103, v31, v74 dst_sel:DWORD dst_unused:UNUSED_PAD src0_sel:WORD_1 src1_sel:DWORD
	v_pk_add_f16 v94, v121, v94
	v_fmamk_f16 v119, v31, 0xb461, v91
	v_pk_add_f16 v34, v34, v38
	v_pk_add_f16 v38, v122, v95
	v_mul_f16_sdwa v95, v117, v90 dst_sel:DWORD dst_unused:UNUSED_PAD src0_sel:WORD_1 src1_sel:DWORD
	v_fmamk_f16 v121, v117, 0xbbb2, v103
	v_add_f16_e32 v96, v119, v96
	v_fma_f16 v91, v31, 0xb461, -v91
	v_fmac_f16_e32 v103, 0x3bb2, v117
	v_fmamk_f16 v119, v31, 0x3b76, v95
	v_add_f16_e32 v99, v121, v99
	v_mul_f16_sdwa v121, v31, v86 dst_sel:DWORD dst_unused:UNUSED_PAD src0_sel:WORD_1 src1_sel:DWORD
	v_add_f16_e32 v91, v91, v92
	v_add_f16_e32 v92, v103, v101
	;; [unrolled: 1-line block ×3, first 2 shown]
	v_mul_f16_sdwa v101, v117, v79 dst_sel:DWORD dst_unused:UNUSED_PAD src0_sel:WORD_1 src1_sel:DWORD
	v_fmamk_f16 v103, v117, 0x35c8, v121
	v_fma_f16 v95, v31, 0x3b76, -v95
	v_mul_f16_sdwa v119, v31, v81 dst_sel:DWORD dst_unused:UNUSED_PAD src0_sel:WORD_1 src1_sel:DWORD
	v_mul_f16_sdwa v83, v117, v83 dst_sel:DWORD dst_unused:UNUSED_PAD src0_sel:WORD_1 src1_sel:DWORD
	v_fmamk_f16 v122, v31, 0xbacd, v101
	v_add_f16_e32 v103, v103, v106
	v_add_f16_e32 v95, v95, v100
	v_fmamk_f16 v100, v117, 0x3836, v119
	v_fma_f16 v101, v31, 0xbacd, -v101
	v_mul_f16_sdwa v106, v117, v109 dst_sel:DWORD dst_unused:UNUSED_PAD src0_sel:WORD_1 src1_sel:DWORD
	v_fmac_f16_e32 v119, 0xb836, v117
	v_fmac_f16_e32 v121, 0xb5c8, v117
	v_add_f16_e32 v100, v100, v107
	v_mul_f16_sdwa v107, v31, v72 dst_sel:DWORD dst_unused:UNUSED_PAD src0_sel:WORD_1 src1_sel:DWORD
	v_add_f16_e32 v89, v101, v89
	v_fmamk_f16 v101, v31, 0x2de8, v106
	v_add_f16_e32 v104, v119, v104
	v_fma_f16 v106, v31, 0x2de8, -v106
	v_fmamk_f16 v119, v117, 0xbbf7, v107
	v_fmac_f16_e32 v107, 0x3bf7, v117
	v_add_f16_e32 v101, v101, v112
	v_fmamk_f16 v112, v31, 0x39e9, v83
	v_add_f16_e32 v106, v106, v108
	v_mul_f16_sdwa v108, v31, v76 dst_sel:DWORD dst_unused:UNUSED_PAD src0_sel:WORD_1 src1_sel:DWORD
	v_add_f16_e32 v107, v107, v110
	v_add_f16_e32 v97, v121, v97
	;; [unrolled: 1-line block ×3, first 2 shown]
	v_mul_f16_sdwa v112, v117, v85 dst_sel:DWORD dst_unused:UNUSED_PAD src0_sel:WORD_1 src1_sel:DWORD
	v_add_f16_e32 v113, v119, v113
	v_mul_f16_sdwa v116, v31, v84 dst_sel:DWORD dst_unused:UNUSED_PAD src0_sel:WORD_1 src1_sel:DWORD
	v_fmamk_f16 v119, v117, 0x3964, v108
	v_fma_f16 v83, v31, 0x39e9, -v83
	v_fmac_f16_e32 v108, 0xb964, v117
	v_fmamk_f16 v121, v31, 0xbbdd, v112
	v_add_f16_e32 v93, v122, v93
	v_fmamk_f16 v122, v117, 0x31e1, v116
	v_add_f16_e32 v83, v83, v105
	v_add_f16_e32 v105, v108, v111
	;; [unrolled: 1-line block ×3, first 2 shown]
	v_pk_add_f16 v114, v32, v33 neg_lo:[0,1] neg_hi:[0,1]
	v_fma_f16 v112, v31, 0xbbdd, -v112
	v_add_f16_e32 v111, v122, v115
	v_fmac_f16_e32 v116, 0xb1e1, v117
	v_mul_f16_sdwa v115, v117, v82 dst_sel:DWORD dst_unused:UNUSED_PAD src0_sel:WORD_1 src1_sel:DWORD
	v_pk_add_f16 v32, v33, v32
	v_pk_mul_f16 v33, 0xb836, v114 op_sel_hi:[0,1]
	v_add_f16_e32 v112, v112, v118
	v_mul_f16_sdwa v118, v31, v73 dst_sel:DWORD dst_unused:UNUSED_PAD src0_sel:WORD_1 src1_sel:DWORD
	v_fmamk_f16 v121, v31, 0x3722, v115
	v_add_f16_e32 v116, v116, v120
	v_pk_fma_f16 v120, 0xbacd, v32, v33 op_sel:[0,0,1] op_sel_hi:[0,1,0]
	v_pk_fma_f16 v33, 0xbacd, v32, v33 op_sel:[0,0,1] op_sel_hi:[0,1,0] neg_lo:[0,0,1] neg_hi:[0,0,1]
	v_fmamk_f16 v122, v117, 0xbb29, v118
	v_fma_f16 v31, v31, 0x3722, -v115
	v_fmac_f16_e32 v118, 0x3b29, v117
	v_mul_f16_sdwa v117, v114, v82 dst_sel:DWORD dst_unused:UNUSED_PAD src0_sel:WORD_1 src1_sel:DWORD
	v_bfi_b32 v115, 0xffff, v120, v33
	v_pk_add_f16 v33, v33, v34
	v_add_f16_e32 v31, v31, v35
	v_add_f16_e32 v35, v118, v102
	v_mul_f16_sdwa v102, v32, v73 dst_sel:DWORD dst_unused:UNUSED_PAD src0_sel:WORD_1 src1_sel:DWORD
	v_pk_add_f16 v94, v115, v94
	v_fmamk_f16 v115, v32, 0x3722, v117
	v_pk_add_f16 v34, v120, v38
	v_mul_f16_sdwa v38, v114, v80 dst_sel:DWORD dst_unused:UNUSED_PAD src0_sel:WORD_1 src1_sel:DWORD
	v_fmamk_f16 v80, v114, 0xbb29, v102
	v_fmac_f16_e32 v102, 0x3b29, v114
	v_add_f16_e32 v96, v115, v96
	v_fma_f16 v115, v32, 0x3722, -v117
	v_fmamk_f16 v117, v32, 0x2de8, v38
	v_add_f16_e32 v80, v80, v99
	v_mul_f16_sdwa v99, v32, v72 dst_sel:DWORD dst_unused:UNUSED_PAD src0_sel:WORD_1 src1_sel:DWORD
	v_add_f16_e32 v92, v102, v92
	v_add_f16_e32 v91, v115, v91
	v_add_f16_e32 v98, v117, v98
	v_mul_f16_sdwa v102, v114, v124 dst_sel:DWORD dst_unused:UNUSED_PAD src0_sel:WORD_1 src1_sel:DWORD
	v_fmamk_f16 v115, v114, 0x3bf7, v99
	v_fma_f16 v38, v32, 0x2de8, -v38
	v_fmac_f16_e32 v99, 0xbbf7, v114
	v_mul_f16_sdwa v117, v32, v77 dst_sel:DWORD dst_unused:UNUSED_PAD src0_sel:WORD_1 src1_sel:DWORD
	v_mul_f16_sdwa v90, v114, v90 dst_sel:DWORD dst_unused:UNUSED_PAD src0_sel:WORD_1 src1_sel:DWORD
	v_fmamk_f16 v118, v32, 0xb8d2, v102
	v_add_f16_e32 v38, v38, v95
	v_add_f16_e32 v95, v99, v97
	v_fmamk_f16 v97, v114, 0xba62, v117
	v_fma_f16 v99, v32, 0xb8d2, -v102
	v_fmac_f16_e32 v117, 0x3a62, v114
	v_mul_f16_sdwa v85, v114, v85 dst_sel:DWORD dst_unused:UNUSED_PAD src0_sel:WORD_1 src1_sel:DWORD
	v_mul_f16_sdwa v84, v32, v84 dst_sel:DWORD dst_unused:UNUSED_PAD src0_sel:WORD_1 src1_sel:DWORD
	v_add_f16_e32 v97, v97, v100
	v_mul_f16_sdwa v100, v32, v86 dst_sel:DWORD dst_unused:UNUSED_PAD src0_sel:WORD_1 src1_sel:DWORD
	v_add_f16_e32 v89, v99, v89
	v_fmamk_f16 v99, v32, 0x3b76, v90
	v_fma_f16 v90, v32, 0x3b76, -v90
	v_add_f16_e32 v102, v117, v104
	v_fmamk_f16 v104, v114, 0x35c8, v100
	v_fmac_f16_e32 v100, 0xb5c8, v114
	v_add_f16_e32 v99, v99, v101
	v_add_f16_e32 v90, v90, v106
	v_mul_f16_sdwa v106, v114, v88 dst_sel:DWORD dst_unused:UNUSED_PAD src0_sel:WORD_1 src1_sel:DWORD
	v_fmamk_f16 v101, v32, 0xbbdd, v85
	v_add_f16_e32 v104, v104, v113
	v_fma_f16 v85, v32, 0xbbdd, -v85
	v_add_f16_e32 v100, v100, v107
	v_fmamk_f16 v113, v32, 0x39e9, v106
	v_mul_f16_sdwa v107, v32, v76 dst_sel:DWORD dst_unused:UNUSED_PAD src0_sel:WORD_1 src1_sel:DWORD
	v_add_f16_e32 v103, v115, v103
	v_add_f16_e32 v83, v85, v83
	;; [unrolled: 1-line block ×4, first 2 shown]
	v_pk_add_f16 v108, v29, v30 neg_lo:[0,1] neg_hi:[0,1]
	v_fmamk_f16 v110, v114, 0x31e1, v84
	v_fmac_f16_e32 v84, 0xb1e1, v114
	v_fmamk_f16 v115, v114, 0xb964, v107
	v_pk_add_f16 v29, v30, v29
	v_pk_mul_f16 v30, 0xb1e1, v108 op_sel_hi:[0,1]
	v_fma_f16 v106, v32, 0x39e9, -v106
	v_add_f16_e32 v84, v84, v105
	v_add_f16_e32 v105, v115, v111
	v_mul_f16_sdwa v111, v114, v75 dst_sel:DWORD dst_unused:UNUSED_PAD src0_sel:WORD_1 src1_sel:DWORD
	v_fmac_f16_e32 v107, 0x3964, v114
	v_mul_f16_sdwa v113, v32, v74 dst_sel:DWORD dst_unused:UNUSED_PAD src0_sel:WORD_1 src1_sel:DWORD
	v_pk_fma_f16 v115, 0xbbdd, v29, v30 op_sel:[0,0,1] op_sel_hi:[0,1,0]
	v_pk_fma_f16 v30, 0xbbdd, v29, v30 op_sel:[0,0,1] op_sel_hi:[0,1,0] neg_lo:[0,0,1] neg_hi:[0,0,1]
	v_add_f16_e32 v106, v106, v112
	v_fmamk_f16 v112, v32, 0xb461, v111
	v_add_f16_e32 v107, v107, v116
	v_fmamk_f16 v116, v114, 0x3bb2, v113
	v_fma_f16 v32, v32, 0xb461, -v111
	v_fmac_f16_e32 v113, 0xbbb2, v114
	v_bfi_b32 v111, 0xffff, v115, v30
	v_mul_f16_sdwa v87, v108, v87 dst_sel:DWORD dst_unused:UNUSED_PAD src0_sel:WORD_1 src1_sel:DWORD
	v_mul_f16_sdwa v86, v29, v86 dst_sel:DWORD dst_unused:UNUSED_PAD src0_sel:WORD_1 src1_sel:DWORD
	v_add_f16_e32 v31, v32, v31
	v_add_f16_e32 v32, v113, v35
	v_pk_add_f16 v35, v111, v94
	v_fmamk_f16 v94, v29, 0x3b76, v87
	v_add_f16_e32 v133, v184, v171
	v_pk_add_f16 v30, v30, v33
	v_pk_add_f16 v33, v115, v34
	v_mul_f16_sdwa v34, v108, v79 dst_sel:DWORD dst_unused:UNUSED_PAD src0_sel:WORD_1 src1_sel:DWORD
	v_add_f16_e32 v79, v94, v96
	v_fmamk_f16 v94, v108, 0xb5c8, v86
	v_fmac_f16_e32 v86, 0x35c8, v108
	v_mul_f16_sdwa v81, v29, v81 dst_sel:DWORD dst_unused:UNUSED_PAD src0_sel:WORD_1 src1_sel:DWORD
	v_mul_f16_sdwa v88, v108, v88 dst_sel:DWORD dst_unused:UNUSED_PAD src0_sel:WORD_1 src1_sel:DWORD
	v_add_f16_e32 v37, v197, v133
	v_add_f16_e32 v93, v118, v93
	v_fmamk_f16 v96, v29, 0xbacd, v34
	v_add_f16_e32 v80, v94, v80
	v_add_f16_e32 v86, v86, v92
	v_fmamk_f16 v92, v108, 0x3836, v81
	v_fma_f16 v34, v29, 0xbacd, -v34
	v_fmac_f16_e32 v81, 0xb836, v108
	v_fmamk_f16 v94, v29, 0x39e9, v88
	v_mul_f16_sdwa v78, v108, v78 dst_sel:DWORD dst_unused:UNUSED_PAD src0_sel:WORD_1 src1_sel:DWORD
	v_mul_f16_sdwa v82, v108, v82 dst_sel:DWORD dst_unused:UNUSED_PAD src0_sel:WORD_1 src1_sel:DWORD
	v_add_f16_e32 v37, v131, v37
	v_fma_f16 v87, v29, 0x3b76, -v87
	v_add_f16_e32 v34, v34, v38
	v_add_f16_e32 v38, v81, v95
	;; [unrolled: 1-line block ×3, first 2 shown]
	v_fmamk_f16 v94, v29, 0xb8d2, v78
	v_fma_f16 v78, v29, 0xb8d2, -v78
	v_fmamk_f16 v95, v29, 0x3722, v82
	v_mul_f16_sdwa v73, v29, v73 dst_sel:DWORD dst_unused:UNUSED_PAD src0_sel:WORD_1 src1_sel:DWORD
	v_mul_f16_sdwa v75, v108, v75 dst_sel:DWORD dst_unused:UNUSED_PAD src0_sel:WORD_1 src1_sel:DWORD
	v_add_f16_e32 v125, v126, v125
	v_add_f16_e32 v37, v128, v37
	;; [unrolled: 1-line block ×4, first 2 shown]
	v_mul_f16_sdwa v76, v29, v76 dst_sel:DWORD dst_unused:UNUSED_PAD src0_sel:WORD_1 src1_sel:DWORD
	v_add_f16_e32 v78, v78, v90
	v_add_f16_e32 v90, v95, v101
	v_fmamk_f16 v95, v108, 0xbb29, v73
	v_fmac_f16_e32 v73, 0x3b29, v108
	v_fmamk_f16 v96, v29, 0xb461, v75
	v_fma_f16 v88, v29, 0x39e9, -v88
	v_mul_f16_sdwa v77, v29, v77 dst_sel:DWORD dst_unused:UNUSED_PAD src0_sel:WORD_1 src1_sel:DWORD
	v_add_f16_e32 v119, v119, v123
	v_fma_f16 v82, v29, 0x3722, -v82
	v_mul_f16_sdwa v74, v29, v74 dst_sel:DWORD dst_unused:UNUSED_PAD src0_sel:WORD_1 src1_sel:DWORD
	v_add_f16_e32 v121, v121, v125
	v_add_f16_e32 v37, v122, v37
	v_fmamk_f16 v81, v108, 0xb964, v76
	v_add_f16_e32 v73, v73, v84
	v_add_f16_e32 v84, v96, v85
	v_mul_f16_sdwa v85, v108, v109 dst_sel:DWORD dst_unused:UNUSED_PAD src0_sel:WORD_1 src1_sel:DWORD
	v_mul_f16_sdwa v72, v29, v72 dst_sel:DWORD dst_unused:UNUSED_PAD src0_sel:WORD_1 src1_sel:DWORD
	v_add_f16_e32 v88, v88, v89
	v_add_f16_e32 v89, v94, v99
	v_fmamk_f16 v94, v108, 0x3a62, v77
	v_add_f16_e32 v110, v110, v119
	v_add_f16_e32 v82, v82, v83
	v_fmamk_f16 v83, v108, 0x3bb2, v74
	v_add_f16_e32 v112, v112, v121
	v_add_f16_e32 v37, v116, v37
	;; [unrolled: 1-line block ×3, first 2 shown]
	v_fma_f16 v75, v29, 0xb461, -v75
	v_fmamk_f16 v96, v29, 0x2de8, v85
	v_fmamk_f16 v97, v108, 0xbbf7, v72
	v_fma_f16 v29, v29, 0x2de8, -v85
	v_fmac_f16_e32 v72, 0x3bf7, v108
	v_fmac_f16_e32 v74, 0xbbb2, v108
	v_add_f16_e32 v92, v92, v103
	v_fmac_f16_e32 v76, 0x3964, v108
	v_fmac_f16_e32 v77, 0xba62, v108
	v_add_f16_e32 v94, v94, v104
	v_add_f16_e32 v95, v95, v110
	;; [unrolled: 1-line block ×11, first 2 shown]
	v_pack_b32_f16 v32, v91, v92
	v_pack_b32_f16 v72, v79, v80
	;; [unrolled: 1-line block ×8, first 2 shown]
	ds_write2_b32 v62, v36, v35 offset1:1
	ds_write2_b32 v62, v72, v32 offset0:2 offset1:3
	ds_write2_b32 v62, v80, v79 offset0:4 offset1:5
	;; [unrolled: 1-line block ×3, first 2 shown]
	v_pack_b32_f16 v32, v82, v73
	v_pack_b32_f16 v35, v75, v74
	;; [unrolled: 1-line block ×6, first 2 shown]
	v_bfi_b32 v30, 0xffff, v30, v33
	ds_write2_b32 v62, v31, v29 offset0:8 offset1:9
	ds_write2_b32 v62, v35, v32 offset0:10 offset1:11
	;; [unrolled: 1-line block ×4, first 2 shown]
	ds_write_b32 v62, v30 offset:64
	s_waitcnt lgkmcnt(0)
	s_barrier
	buffer_gl0_inv
	ds_read2_b32 v[36:37], v43 offset1:102
	ds_read2_b32 v[29:30], v71 offset0:76 offset1:178
	ds_read2_b32 v[32:33], v41 offset0:152 offset1:254
	;; [unrolled: 1-line block ×7, first 2 shown]
	ds_read_b32 v38, v43 offset:6528
	s_waitcnt lgkmcnt(0)
	s_barrier
	buffer_gl0_inv
	v_lshrrev_b32_e32 v31, 16, v37
	v_lshrrev_b32_e32 v34, 16, v29
	;; [unrolled: 1-line block ×3, first 2 shown]
	v_mul_f16_sdwa v90, v8, v37 dst_sel:DWORD dst_unused:UNUSED_PAD src0_sel:WORD_1 src1_sel:DWORD
	v_lshrrev_b32_e32 v62, 16, v32
	v_mul_f16_sdwa v87, v8, v31 dst_sel:DWORD dst_unused:UNUSED_PAD src0_sel:WORD_1 src1_sel:DWORD
	v_lshrrev_b32_e32 v64, 16, v33
	v_lshrrev_b32_e32 v79, 16, v71
	v_mul_f16_sdwa v92, v9, v29 dst_sel:DWORD dst_unused:UNUSED_PAD src0_sel:WORD_1 src1_sel:DWORD
	v_fma_f16 v90, v8, v31, -v90
	v_fmac_f16_e32 v87, v8, v37
	v_mul_f16_sdwa v37, v9, v34 dst_sel:DWORD dst_unused:UNUSED_PAD src0_sel:WORD_1 src1_sel:DWORD
	v_mul_f16_sdwa v93, v10, v35 dst_sel:DWORD dst_unused:UNUSED_PAD src0_sel:WORD_1 src1_sel:DWORD
	;; [unrolled: 1-line block ×3, first 2 shown]
	v_lshrrev_b32_e32 v80, 16, v72
	v_fma_f16 v92, v9, v34, -v92
	v_fmac_f16_e32 v37, v9, v29
	v_mul_f16_sdwa v34, v11, v62 dst_sel:DWORD dst_unused:UNUSED_PAD src0_sel:WORD_1 src1_sel:DWORD
	v_fmac_f16_e32 v93, v10, v30
	v_fma_f16 v94, v10, v35, -v8
	v_mul_f16_sdwa v8, v11, v32 dst_sel:DWORD dst_unused:UNUSED_PAD src0_sel:WORD_1 src1_sel:DWORD
	v_mul_f16_sdwa v31, v4, v64 dst_sel:DWORD dst_unused:UNUSED_PAD src0_sel:WORD_1 src1_sel:DWORD
	;; [unrolled: 1-line block ×5, first 2 shown]
	v_fmac_f16_e32 v34, v11, v32
	v_fma_f16 v35, v11, v62, -v8
	v_fmac_f16_e32 v31, v4, v33
	v_fma_f16 v32, v4, v64, -v9
	v_fmac_f16_e32 v29, v5, v71
	v_mul_f16_sdwa v8, v6, v80 dst_sel:DWORD dst_unused:UNUSED_PAD src0_sel:WORD_1 src1_sel:DWORD
	v_mul_f16_sdwa v4, v6, v72 dst_sel:DWORD dst_unused:UNUSED_PAD src0_sel:WORD_1 src1_sel:DWORD
	v_fma_f16 v30, v5, v79, -v10
	v_add_f16_e32 v5, v36, v87
	v_add_f16_sdwa v10, v36, v90 dst_sel:DWORD dst_unused:UNUSED_PAD src0_sel:WORD_1 src1_sel:DWORD
	v_fmac_f16_e32 v8, v6, v72
	v_fma_f16 v9, v6, v80, -v4
	v_lshrrev_b32_e32 v81, 16, v73
	v_add_f16_e32 v6, v5, v37
	v_add_f16_e32 v10, v10, v92
	v_mul_f16_sdwa v11, v7, v73 dst_sel:DWORD dst_unused:UNUSED_PAD src0_sel:WORD_1 src1_sel:DWORD
	v_lshrrev_b32_e32 v83, 16, v75
	v_lshrrev_b32_e32 v82, 16, v74
	v_add_f16_e32 v33, v6, v93
	v_add_f16_e32 v10, v10, v94
	v_fma_f16 v6, v7, v81, -v11
	v_mul_f16_sdwa v4, v7, v81 dst_sel:DWORD dst_unused:UNUSED_PAD src0_sel:WORD_1 src1_sel:DWORD
	v_mul_f16_sdwa v62, v13, v75 dst_sel:DWORD dst_unused:UNUSED_PAD src0_sel:WORD_1 src1_sel:DWORD
	v_add_f16_e32 v11, v33, v34
	v_add_f16_e32 v33, v10, v35
	v_mul_f16_sdwa v10, v13, v83 dst_sel:DWORD dst_unused:UNUSED_PAD src0_sel:WORD_1 src1_sel:DWORD
	v_lshrrev_b32_e32 v84, 16, v76
	v_mul_f16_sdwa v5, v12, v82 dst_sel:DWORD dst_unused:UNUSED_PAD src0_sel:WORD_1 src1_sel:DWORD
	v_add_f16_e32 v64, v11, v31
	v_add_f16_e32 v33, v33, v32
	v_fmac_f16_e32 v4, v7, v73
	v_mul_f16_sdwa v7, v12, v74 dst_sel:DWORD dst_unused:UNUSED_PAD src0_sel:WORD_1 src1_sel:DWORD
	v_fmac_f16_e32 v10, v13, v75
	v_fma_f16 v11, v13, v83, -v62
	v_add_f16_e32 v13, v64, v29
	v_add_f16_e32 v62, v33, v30
	v_lshrrev_b32_e32 v85, 16, v69
	v_fmac_f16_e32 v5, v12, v74
	v_fma_f16 v7, v12, v82, -v7
	v_mul_f16_sdwa v12, v14, v84 dst_sel:DWORD dst_unused:UNUSED_PAD src0_sel:WORD_1 src1_sel:DWORD
	v_mul_f16_sdwa v64, v14, v76 dst_sel:DWORD dst_unused:UNUSED_PAD src0_sel:WORD_1 src1_sel:DWORD
	v_add_f16_e32 v71, v13, v8
	v_add_f16_e32 v62, v62, v9
	v_lshrrev_b32_e32 v86, 16, v70
	v_mul_f16_sdwa v33, v15, v85 dst_sel:DWORD dst_unused:UNUSED_PAD src0_sel:WORD_1 src1_sel:DWORD
	v_fmac_f16_e32 v12, v14, v76
	v_fma_f16 v13, v14, v84, -v64
	v_mul_f16_sdwa v14, v15, v69 dst_sel:DWORD dst_unused:UNUSED_PAD src0_sel:WORD_1 src1_sel:DWORD
	v_add_f16_e32 v64, v71, v4
	v_add_f16_e32 v62, v62, v6
	v_fmac_f16_e32 v33, v15, v69
	v_mul_f16_sdwa v69, v0, v86 dst_sel:DWORD dst_unused:UNUSED_PAD src0_sel:WORD_1 src1_sel:DWORD
	v_mul_f16_sdwa v71, v0, v70 dst_sel:DWORD dst_unused:UNUSED_PAD src0_sel:WORD_1 src1_sel:DWORD
	v_fma_f16 v14, v15, v85, -v14
	v_add_f16_e32 v15, v64, v5
	v_add_f16_e32 v62, v62, v7
	v_fmac_f16_e32 v69, v0, v70
	v_fma_f16 v64, v0, v86, -v71
	v_lshrrev_b32_e32 v88, 16, v77
	v_add_f16_e32 v0, v15, v10
	v_add_f16_e32 v15, v62, v11
	v_lshrrev_b32_e32 v89, 16, v78
	v_mul_f16_sdwa v62, v1, v77 dst_sel:DWORD dst_unused:UNUSED_PAD src0_sel:WORD_1 src1_sel:DWORD
	v_mul_f16_sdwa v70, v1, v88 dst_sel:DWORD dst_unused:UNUSED_PAD src0_sel:WORD_1 src1_sel:DWORD
	v_add_f16_e32 v0, v0, v12
	v_add_f16_e32 v15, v15, v13
	v_lshrrev_b32_e32 v91, 16, v38
	v_mul_f16_sdwa v71, v2, v89 dst_sel:DWORD dst_unused:UNUSED_PAD src0_sel:WORD_1 src1_sel:DWORD
	v_fmac_f16_e32 v70, v1, v77
	v_fma_f16 v62, v1, v88, -v62
	v_add_f16_e32 v15, v15, v14
	v_mul_f16_sdwa v1, v3, v38 dst_sel:DWORD dst_unused:UNUSED_PAD src0_sel:WORD_1 src1_sel:DWORD
	v_add_f16_e32 v0, v0, v33
	v_mul_f16_sdwa v73, v2, v78 dst_sel:DWORD dst_unused:UNUSED_PAD src0_sel:WORD_1 src1_sel:DWORD
	v_fmac_f16_e32 v71, v2, v78
	v_add_f16_e32 v15, v15, v64
	v_mul_f16_sdwa v72, v3, v91 dst_sel:DWORD dst_unused:UNUSED_PAD src0_sel:WORD_1 src1_sel:DWORD
	v_fma_f16 v1, v3, v91, -v1
	v_add_f16_e32 v0, v0, v69
	v_fma_f16 v2, v2, v89, -v73
	v_add_f16_e32 v15, v15, v62
	v_fmac_f16_e32 v72, v3, v38
	v_sub_f16_e32 v3, v90, v1
	v_add_f16_e32 v0, v0, v70
	v_add_f16_e32 v73, v90, v1
	;; [unrolled: 1-line block ×4, first 2 shown]
	v_mul_f16_e32 v74, 0xb5c8, v3
	v_add_f16_e32 v0, v0, v71
	v_sub_f16_e32 v75, v87, v72
	v_mul_f16_e32 v76, 0x3b76, v73
	v_add_f16_e32 v1, v15, v1
	v_mul_f16_e32 v15, 0xb964, v3
	v_mul_f16_e32 v79, 0x39e9, v73
	;; [unrolled: 1-line block ×14, first 2 shown]
	v_sub_f16_e32 v105, v92, v2
	v_add_f16_e32 v2, v92, v2
	v_fmamk_f16 v77, v38, 0x3b76, v74
	v_add_f16_e32 v0, v0, v72
	v_fmamk_f16 v72, v75, 0x35c8, v76
	v_fma_f16 v74, v38, 0x3b76, -v74
	v_fmac_f16_e32 v76, 0xb5c8, v75
	v_fmamk_f16 v78, v38, 0x39e9, v15
	v_fmamk_f16 v81, v75, 0x3964, v79
	v_fma_f16 v15, v38, 0x39e9, -v15
	v_fmac_f16_e32 v79, 0xb964, v75
	v_fmamk_f16 v83, v38, 0x3722, v80
	;; [unrolled: 4-line block ×7, first 2 shown]
	v_fmamk_f16 v106, v75, 0x31e1, v73
	v_fma_f16 v3, v38, 0xbbdd, -v3
	v_add_f16_e32 v38, v37, v71
	v_mul_f16_e32 v92, 0xb964, v105
	v_fmac_f16_e32 v73, 0xb1e1, v75
	v_sub_f16_e32 v37, v37, v71
	v_mul_f16_e32 v71, 0x39e9, v2
	v_add_f16_e32 v77, v36, v77
	v_add_f16_sdwa v72, v36, v72 dst_sel:DWORD dst_unused:UNUSED_PAD src0_sel:WORD_1 src1_sel:DWORD
	v_add_f16_e32 v74, v36, v74
	v_add_f16_sdwa v76, v36, v76 dst_sel:DWORD dst_unused:UNUSED_PAD src0_sel:WORD_1 src1_sel:DWORD
	;; [unrolled: 2-line block ×15, first 2 shown]
	v_fmamk_f16 v106, v38, 0x39e9, v92
	v_add_f16_e32 v3, v36, v3
	v_add_f16_sdwa v36, v36, v73 dst_sel:DWORD dst_unused:UNUSED_PAD src0_sel:WORD_1 src1_sel:DWORD
	v_fmamk_f16 v73, v37, 0x3964, v71
	v_mul_f16_e32 v107, 0xbbf7, v105
	v_fmac_f16_e32 v71, 0xb964, v37
	v_add_f16_e32 v77, v106, v77
	v_fma_f16 v92, v38, 0x39e9, -v92
	v_add_f16_e32 v72, v73, v72
	v_fmamk_f16 v73, v38, 0x2de8, v107
	v_mul_f16_e32 v106, 0x2de8, v2
	v_add_f16_e32 v71, v71, v76
	v_mul_f16_e32 v76, 0xba62, v105
	v_add_f16_e32 v74, v92, v74
	v_add_f16_e32 v73, v73, v78
	v_fmamk_f16 v78, v37, 0x3bf7, v106
	v_fma_f16 v92, v38, 0x2de8, -v107
	v_fmamk_f16 v107, v38, 0xb8d2, v76
	v_mul_f16_e32 v108, 0xb8d2, v2
	v_fmac_f16_e32 v106, 0xbbf7, v37
	v_add_f16_e32 v78, v78, v81
	v_add_f16_e32 v15, v92, v15
	;; [unrolled: 1-line block ×3, first 2 shown]
	v_fmamk_f16 v83, v37, 0x3a62, v108
	v_mul_f16_e32 v92, 0xb1e1, v105
	v_add_f16_e32 v79, v106, v79
	v_fma_f16 v76, v38, 0xb8d2, -v76
	v_fmac_f16_e32 v108, 0xba62, v37
	v_mul_f16_e32 v106, 0xbbdd, v2
	v_add_f16_e32 v83, v83, v84
	v_fmamk_f16 v84, v38, 0xbbdd, v92
	v_add_f16_e32 v76, v76, v80
	v_add_f16_e32 v80, v108, v82
	v_fmamk_f16 v82, v37, 0x31e1, v106
	v_mul_f16_e32 v107, 0x3836, v105
	v_add_f16_e32 v84, v84, v87
	v_fma_f16 v87, v38, 0xbbdd, -v92
	v_fmac_f16_e32 v106, 0xb1e1, v37
	v_add_f16_e32 v82, v82, v89
	v_fmamk_f16 v89, v38, 0xbacd, v107
	v_mul_f16_e32 v92, 0xbacd, v2
	v_add_f16_e32 v85, v87, v85
	v_mul_f16_e32 v87, 0x3bb2, v105
	v_add_f16_e32 v86, v106, v86
	v_add_f16_e32 v89, v89, v90
	v_fmamk_f16 v90, v37, 0xb836, v92
	v_fma_f16 v106, v38, 0xbacd, -v107
	v_fmac_f16_e32 v92, 0x3836, v37
	v_fmamk_f16 v107, v38, 0xb461, v87
	v_mul_f16_e32 v108, 0xb461, v2
	v_add_f16_e32 v90, v90, v96
	v_add_f16_e32 v88, v106, v88
	;; [unrolled: 1-line block ×4, first 2 shown]
	v_fmamk_f16 v96, v37, 0xbbb2, v108
	v_mul_f16_e32 v98, 0x3b29, v105
	v_fma_f16 v87, v38, 0xb461, -v87
	v_mul_f16_e32 v106, 0x3722, v2
	v_mul_f16_e32 v105, 0x35c8, v105
	v_add_f16_e32 v96, v96, v99
	v_fmamk_f16 v99, v38, 0x3722, v98
	v_fma_f16 v98, v38, 0x3722, -v98
	v_add_f16_e32 v87, v87, v95
	v_fmamk_f16 v95, v37, 0xbb29, v106
	v_fmac_f16_e32 v106, 0x3b29, v37
	v_add_f16_e32 v99, v99, v102
	v_fmamk_f16 v102, v38, 0x3b76, v105
	v_add_f16_e32 v98, v98, v100
	v_sub_f16_e32 v100, v94, v62
	v_mul_f16_e32 v2, 0x3b76, v2
	v_add_f16_e32 v101, v106, v101
	v_add_f16_e32 v102, v102, v104
	v_add_f16_e32 v104, v93, v70
	v_mul_f16_e32 v106, 0xbb29, v100
	v_add_f16_e32 v62, v94, v62
	v_fmac_f16_e32 v108, 0x3bb2, v37
	v_add_f16_e32 v95, v95, v103
	v_fmamk_f16 v103, v37, 0xb5c8, v2
	v_fma_f16 v38, v38, 0x3b76, -v105
	v_fmac_f16_e32 v2, 0x35c8, v37
	v_sub_f16_e32 v37, v93, v70
	v_fmamk_f16 v70, v104, 0x3722, v106
	v_mul_f16_e32 v93, 0x3722, v62
	v_add_f16_e32 v3, v38, v3
	v_add_f16_e32 v2, v2, v36
	v_mul_f16_e32 v94, 0xb8d2, v62
	v_add_f16_e32 v36, v70, v77
	v_fmamk_f16 v38, v37, 0x3b29, v93
	v_mul_f16_e32 v70, 0xba62, v100
	v_fma_f16 v77, v104, 0x3722, -v106
	v_fmac_f16_e32 v93, 0xbb29, v37
	v_add_f16_e32 v75, v103, v75
	v_add_f16_e32 v38, v38, v72
	v_fmamk_f16 v72, v104, 0xb8d2, v70
	v_add_f16_e32 v74, v77, v74
	v_add_f16_e32 v71, v93, v71
	v_fmamk_f16 v77, v37, 0x3a62, v94
	v_mul_f16_e32 v93, 0x31e1, v100
	v_fma_f16 v70, v104, 0xb8d2, -v70
	v_fmac_f16_e32 v94, 0xba62, v37
	v_add_f16_e32 v72, v72, v73
	v_add_f16_e32 v73, v77, v78
	v_fmamk_f16 v77, v104, 0xbbdd, v93
	v_mul_f16_e32 v78, 0xbbdd, v62
	v_add_f16_e32 v15, v70, v15
	v_add_f16_e32 v70, v94, v79
	v_mul_f16_e32 v79, 0x3bb2, v100
	v_add_f16_e32 v77, v77, v81
	v_fmamk_f16 v81, v37, 0xb1e1, v78
	v_fma_f16 v93, v104, 0xbbdd, -v93
	v_fmac_f16_e32 v78, 0x31e1, v37
	v_fmamk_f16 v94, v104, 0xb461, v79
	v_mul_f16_e32 v103, 0xb461, v62
	v_add_f16_e32 v81, v81, v83
	v_add_f16_e32 v76, v93, v76
	v_add_f16_e32 v78, v78, v80
	v_add_f16_e32 v80, v94, v84
	v_fmamk_f16 v83, v37, 0xbbb2, v103
	v_mul_f16_e32 v84, 0x3964, v100
	v_fma_f16 v79, v104, 0xb461, -v79
	v_fmac_f16_e32 v103, 0x3bb2, v37
	v_mul_f16_e32 v93, 0x39e9, v62
	v_add_f16_e32 v82, v83, v82
	v_fmamk_f16 v83, v104, 0x39e9, v84
	v_add_f16_e32 v79, v79, v85
	v_add_f16_e32 v85, v103, v86
	v_fmamk_f16 v86, v37, 0xb964, v93
	v_mul_f16_e32 v94, 0xb5c8, v100
	v_fma_f16 v84, v104, 0x39e9, -v84
	v_fmac_f16_e32 v93, 0x3964, v37
	v_add_f16_e32 v83, v83, v89
	v_add_f16_e32 v86, v86, v90
	v_fmamk_f16 v89, v104, 0x3b76, v94
	v_mul_f16_e32 v90, 0x3b76, v62
	v_add_f16_e32 v84, v84, v88
	v_add_f16_e32 v88, v93, v91
	v_mul_f16_e32 v91, 0xbbf7, v100
	v_add_f16_e32 v97, v108, v97
	v_add_f16_e32 v89, v89, v92
	v_fmamk_f16 v92, v37, 0x35c8, v90
	v_fma_f16 v93, v104, 0x3b76, -v94
	v_fmac_f16_e32 v90, 0xb5c8, v37
	v_fmamk_f16 v94, v104, 0x2de8, v91
	v_mul_f16_e32 v103, 0x2de8, v62
	v_mul_f16_e32 v62, 0xbacd, v62
	v_add_f16_e32 v92, v92, v96
	v_add_f16_e32 v87, v93, v87
	;; [unrolled: 1-line block ×4, first 2 shown]
	v_fmamk_f16 v94, v37, 0x3bf7, v103
	v_mul_f16_e32 v96, 0xb836, v100
	v_fmamk_f16 v97, v37, 0x3836, v62
	v_sub_f16_e32 v99, v35, v64
	v_add_f16_e32 v35, v35, v64
	v_fmac_f16_e32 v103, 0xbbf7, v37
	v_add_f16_e32 v94, v94, v95
	v_fmamk_f16 v95, v104, 0xbacd, v96
	v_add_f16_e32 v75, v97, v75
	v_add_f16_e32 v97, v34, v69
	v_mul_f16_e32 v64, 0xbbf7, v99
	v_fma_f16 v96, v104, 0xbacd, -v96
	v_fmac_f16_e32 v62, 0xb836, v37
	v_sub_f16_e32 v34, v34, v69
	v_mul_f16_e32 v37, 0x2de8, v35
	v_fmamk_f16 v69, v97, 0x2de8, v64
	v_add_f16_e32 v3, v96, v3
	v_add_f16_e32 v2, v62, v2
	v_mul_f16_e32 v62, 0xb1e1, v99
	v_fmamk_f16 v96, v34, 0x3bf7, v37
	v_add_f16_e32 v36, v69, v36
	v_fma_f16 v64, v97, 0x2de8, -v64
	v_fmac_f16_e32 v37, 0xbbf7, v34
	v_fmamk_f16 v69, v97, 0xbbdd, v62
	v_add_f16_e32 v38, v96, v38
	v_mul_f16_e32 v96, 0xbbdd, v35
	v_add_f16_e32 v64, v64, v74
	v_add_f16_e32 v37, v37, v71
	;; [unrolled: 1-line block ×3, first 2 shown]
	v_mul_f16_e32 v71, 0x3bb2, v99
	v_fmamk_f16 v72, v34, 0x31e1, v96
	v_fma_f16 v62, v97, 0xbbdd, -v62
	v_fmac_f16_e32 v96, 0xb1e1, v34
	v_mul_f16_e32 v74, 0xb461, v35
	v_fmamk_f16 v100, v97, 0xb461, v71
	v_add_f16_e32 v72, v72, v73
	v_add_f16_e32 v15, v62, v15
	;; [unrolled: 1-line block ×3, first 2 shown]
	v_fmamk_f16 v70, v34, 0xbbb2, v74
	v_add_f16_e32 v73, v100, v77
	v_mul_f16_e32 v77, 0x35c8, v99
	v_fma_f16 v71, v97, 0xb461, -v71
	v_fmac_f16_e32 v74, 0x3bb2, v34
	v_add_f16_e32 v70, v70, v81
	v_mul_f16_e32 v81, 0x3b76, v35
	v_fmamk_f16 v96, v97, 0x3b76, v77
	v_add_f16_e32 v71, v71, v76
	v_add_f16_e32 v74, v74, v78
	v_mul_f16_e32 v76, 0xbb29, v99
	v_fmamk_f16 v78, v34, 0xb5c8, v81
	v_add_f16_e32 v80, v96, v80
	v_fma_f16 v77, v97, 0x3b76, -v77
	v_fmac_f16_e32 v81, 0x35c8, v34
	v_fmamk_f16 v96, v97, 0x3722, v76
	v_add_f16_e32 v78, v78, v82
	v_mul_f16_e32 v82, 0x3722, v35
	v_add_f16_e32 v77, v77, v79
	v_add_f16_e32 v79, v81, v85
	;; [unrolled: 1-line block ×3, first 2 shown]
	v_mul_f16_e32 v83, 0xb836, v99
	v_fmamk_f16 v85, v34, 0x3b29, v82
	v_fma_f16 v76, v97, 0x3722, -v76
	v_fmac_f16_e32 v82, 0xbb29, v34
	v_mul_f16_e32 v96, 0xbacd, v35
	v_fmamk_f16 v100, v97, 0xbacd, v83
	v_fma_f16 v83, v97, 0xbacd, -v83
	v_add_f16_e32 v76, v76, v84
	v_add_f16_e32 v82, v82, v88
	v_fmamk_f16 v84, v34, 0x3836, v96
	v_mul_f16_e32 v88, 0x3a62, v99
	v_fmac_f16_e32 v96, 0xb836, v34
	v_fma_f16 v91, v104, 0x2de8, -v91
	v_add_f16_e32 v83, v83, v87
	v_add_f16_e32 v84, v84, v92
	v_fmamk_f16 v92, v97, 0xb8d2, v88
	v_add_f16_e32 v87, v96, v90
	v_mul_f16_e32 v90, 0x3964, v99
	v_add_f16_e32 v91, v91, v98
	v_add_f16_e32 v95, v95, v102
	;; [unrolled: 1-line block ×4, first 2 shown]
	v_mul_f16_e32 v89, 0xb8d2, v35
	v_add_f16_e32 v92, v92, v93
	v_fma_f16 v88, v97, 0xb8d2, -v88
	v_fmamk_f16 v93, v97, 0x39e9, v90
	v_mul_f16_e32 v35, 0x39e9, v35
	v_fmamk_f16 v96, v34, 0xba62, v89
	v_fma_f16 v90, v97, 0x39e9, -v90
	v_add_f16_e32 v88, v88, v91
	v_add_f16_e32 v91, v93, v95
	v_sub_f16_e32 v93, v32, v14
	v_add_f16_e32 v14, v32, v14
	v_add_f16_e32 v94, v96, v94
	v_fmamk_f16 v95, v34, 0xb964, v35
	v_add_f16_e32 v32, v31, v33
	v_mul_f16_e32 v96, 0xbbb2, v93
	v_fmac_f16_e32 v35, 0x3964, v34
	v_sub_f16_e32 v31, v31, v33
	v_mul_f16_e32 v33, 0xb461, v14
	v_fmac_f16_e32 v89, 0x3a62, v34
	v_add_f16_e32 v34, v95, v75
	v_fmamk_f16 v75, v32, 0xb461, v96
	v_add_f16_e32 v3, v90, v3
	v_add_f16_e32 v2, v35, v2
	v_fmamk_f16 v35, v31, 0x3bb2, v33
	v_mul_f16_e32 v90, 0x3836, v93
	v_fmac_f16_e32 v33, 0xbbb2, v31
	v_add_f16_e32 v36, v75, v36
	v_fma_f16 v75, v32, 0xb461, -v96
	v_add_f16_e32 v35, v35, v38
	v_fmamk_f16 v38, v32, 0xbacd, v90
	v_mul_f16_e32 v95, 0xbacd, v14
	v_add_f16_e32 v33, v33, v37
	v_mul_f16_e32 v37, 0x3964, v93
	v_add_f16_e32 v64, v75, v64
	v_add_f16_e32 v38, v38, v69
	v_fmamk_f16 v69, v31, 0xb836, v95
	v_fma_f16 v75, v32, 0xbacd, -v90
	v_fmamk_f16 v90, v32, 0x39e9, v37
	v_mul_f16_e32 v96, 0x39e9, v14
	v_fmac_f16_e32 v95, 0x3836, v31
	v_add_f16_e32 v69, v69, v72
	v_add_f16_e32 v15, v75, v15
	v_add_f16_e32 v72, v90, v73
	v_fmamk_f16 v73, v31, 0xb964, v96
	v_mul_f16_e32 v75, 0xbb29, v93
	v_fma_f16 v37, v32, 0x39e9, -v37
	v_fmac_f16_e32 v96, 0x3964, v31
	v_mul_f16_e32 v90, 0x3722, v14
	v_add_f16_e32 v62, v95, v62
	v_add_f16_e32 v70, v73, v70
	v_fmamk_f16 v73, v32, 0x3722, v75
	v_add_f16_e32 v37, v37, v71
	v_add_f16_e32 v71, v96, v74
	v_fmamk_f16 v74, v31, 0x3b29, v90
	v_mul_f16_e32 v95, 0xb1e1, v93
	v_fma_f16 v75, v32, 0x3722, -v75
	v_fmac_f16_e32 v90, 0xbb29, v31
	v_add_f16_e32 v73, v73, v80
	v_add_f16_e32 v74, v74, v78
	v_fmamk_f16 v78, v32, 0xbbdd, v95
	v_mul_f16_e32 v80, 0xbbdd, v14
	v_add_f16_e32 v75, v75, v77
	v_add_f16_e32 v77, v90, v79
	v_mul_f16_e32 v79, 0x3bf7, v93
	v_add_f16_e32 v78, v78, v81
	v_fmamk_f16 v81, v31, 0x31e1, v80
	v_fma_f16 v90, v32, 0xbbdd, -v95
	v_fmac_f16_e32 v80, 0xb1e1, v31
	v_fmamk_f16 v95, v32, 0x2de8, v79
	v_mul_f16_e32 v96, 0x2de8, v14
	v_add_f16_e32 v81, v81, v85
	v_add_f16_e32 v98, v103, v101
	v_add_f16_e32 v80, v80, v82
	v_add_f16_e32 v82, v95, v86
	v_fmamk_f16 v85, v31, 0xbbf7, v96
	v_mul_f16_e32 v86, 0xb5c8, v93
	v_add_f16_e32 v76, v90, v76
	v_fma_f16 v79, v32, 0x2de8, -v79
	v_mul_f16_e32 v90, 0x3b76, v14
	v_add_f16_e32 v84, v85, v84
	v_fmamk_f16 v85, v32, 0x3b76, v86
	v_mul_f16_e32 v93, 0xba62, v93
	v_fma_f16 v86, v32, 0x3b76, -v86
	v_add_f16_e32 v89, v89, v98
	v_add_f16_e32 v79, v79, v83
	v_fmamk_f16 v83, v31, 0x35c8, v90
	v_add_f16_e32 v85, v85, v92
	v_fmac_f16_e32 v90, 0xb5c8, v31
	v_fmamk_f16 v92, v32, 0xb8d2, v93
	v_add_f16_e32 v86, v86, v88
	v_sub_f16_e32 v88, v30, v13
	v_add_f16_e32 v83, v83, v94
	v_mul_f16_e32 v14, 0xb8d2, v14
	v_add_f16_e32 v89, v90, v89
	v_add_f16_e32 v90, v92, v91
	;; [unrolled: 1-line block ×3, first 2 shown]
	v_mul_f16_e32 v94, 0xba62, v88
	v_add_f16_e32 v13, v30, v13
	v_fmac_f16_e32 v96, 0x3bf7, v31
	v_fmamk_f16 v91, v31, 0x3a62, v14
	v_fma_f16 v30, v32, 0xb8d2, -v93
	v_fmac_f16_e32 v14, 0xba62, v31
	v_sub_f16_e32 v12, v29, v12
	v_fmamk_f16 v29, v92, 0xb8d2, v94
	v_mul_f16_e32 v31, 0xb8d2, v13
	v_add_f16_e32 v32, v91, v34
	v_add_f16_e32 v3, v30, v3
	;; [unrolled: 1-line block ×4, first 2 shown]
	v_fmamk_f16 v29, v12, 0x3a62, v31
	v_mul_f16_e32 v30, 0x3bb2, v88
	v_fma_f16 v34, v92, 0xb8d2, -v94
	v_fmac_f16_e32 v31, 0xba62, v12
	v_mul_f16_e32 v36, 0xb461, v13
	v_add_f16_e32 v29, v29, v35
	v_fmamk_f16 v35, v92, 0xb461, v30
	v_add_f16_e32 v34, v34, v64
	v_add_f16_e32 v31, v31, v33
	v_fmamk_f16 v33, v12, 0xbbb2, v36
	v_mul_f16_e32 v64, 0xb5c8, v88
	v_fma_f16 v30, v92, 0xb461, -v30
	v_fmac_f16_e32 v36, 0x3bb2, v12
	v_add_f16_e32 v35, v35, v38
	v_add_f16_e32 v33, v33, v69
	v_fmamk_f16 v38, v92, 0x3b76, v64
	v_mul_f16_e32 v69, 0x3b76, v13
	v_add_f16_e32 v15, v30, v15
	v_add_f16_e32 v30, v36, v62
	v_mul_f16_e32 v36, 0xb836, v88
	v_add_f16_e32 v38, v38, v72
	v_fmamk_f16 v62, v12, 0x35c8, v69
	v_fma_f16 v64, v92, 0x3b76, -v64
	v_fmac_f16_e32 v69, 0xb5c8, v12
	v_fmamk_f16 v72, v92, 0xbacd, v36
	v_mul_f16_e32 v91, 0xbacd, v13
	v_add_f16_e32 v62, v62, v70
	v_add_f16_e32 v37, v64, v37
	;; [unrolled: 1-line block ×4, first 2 shown]
	v_fmamk_f16 v70, v12, 0x3836, v91
	v_mul_f16_e32 v71, 0x3bf7, v88
	v_fma_f16 v36, v92, 0xbacd, -v36
	v_fmac_f16_e32 v91, 0xb836, v12
	v_mul_f16_e32 v72, 0x2de8, v13
	v_add_f16_e32 v70, v70, v74
	v_fmamk_f16 v73, v92, 0x2de8, v71
	v_add_f16_e32 v36, v36, v75
	v_add_f16_e32 v74, v91, v77
	v_fmamk_f16 v75, v12, 0xbbf7, v72
	v_mul_f16_e32 v77, 0xb964, v88
	v_fma_f16 v71, v92, 0x2de8, -v71
	v_add_f16_e32 v73, v73, v78
	v_fmac_f16_e32 v72, 0x3bf7, v12
	v_add_f16_e32 v75, v75, v81
	v_fmamk_f16 v78, v92, 0x39e9, v77
	v_mul_f16_e32 v81, 0x39e9, v13
	v_add_f16_e32 v71, v71, v76
	v_mul_f16_e32 v76, 0xb1e1, v88
	v_add_f16_e32 v87, v96, v87
	v_add_f16_e32 v72, v72, v80
	;; [unrolled: 1-line block ×3, first 2 shown]
	v_fmamk_f16 v80, v12, 0x3964, v81
	v_fma_f16 v77, v92, 0x39e9, -v77
	v_fmac_f16_e32 v81, 0xb964, v12
	v_fmamk_f16 v82, v92, 0xbbdd, v76
	v_mul_f16_e32 v91, 0xbbdd, v13
	v_mul_f16_e32 v13, 0x3722, v13
	v_add_f16_e32 v77, v77, v79
	v_add_f16_e32 v79, v81, v87
	;; [unrolled: 1-line block ×3, first 2 shown]
	v_sub_f16_e32 v87, v9, v11
	v_fmamk_f16 v85, v12, 0xbb29, v13
	v_add_f16_e32 v80, v80, v84
	v_fmamk_f16 v82, v12, 0x31e1, v91
	v_mul_f16_e32 v84, 0x3b29, v88
	v_add_f16_e32 v9, v9, v11
	v_add_f16_e32 v32, v85, v32
	;; [unrolled: 1-line block ×3, first 2 shown]
	v_mul_f16_e32 v11, 0xb836, v87
	v_fmac_f16_e32 v13, 0x3b29, v12
	v_fmac_f16_e32 v91, 0xb1e1, v12
	v_add_f16_e32 v82, v82, v83
	v_fmamk_f16 v83, v92, 0x3722, v84
	v_fma_f16 v84, v92, 0x3722, -v84
	v_sub_f16_e32 v8, v8, v10
	v_mul_f16_e32 v10, 0xbacd, v9
	v_fmamk_f16 v12, v85, 0xbacd, v11
	v_add_f16_e32 v2, v13, v2
	v_mul_f16_e32 v13, 0x3b29, v87
	v_add_f16_e32 v3, v84, v3
	v_fmamk_f16 v84, v8, 0x3836, v10
	v_add_f16_e32 v12, v12, v14
	v_fmac_f16_e32 v10, 0xb836, v8
	v_fmamk_f16 v14, v85, 0x3722, v13
	v_fma_f16 v11, v85, 0xbacd, -v11
	v_add_f16_e32 v29, v84, v29
	v_mul_f16_e32 v84, 0x3722, v9
	v_add_f16_e32 v10, v10, v31
	v_add_f16_e32 v31, v14, v35
	v_mul_f16_e32 v14, 0xbbf7, v87
	v_fma_f16 v13, v85, 0x3722, -v13
	v_mul_f16_e32 v35, 0x2de8, v9
	v_add_f16_e32 v11, v11, v34
	v_fmamk_f16 v34, v8, 0xbb29, v84
	v_fmamk_f16 v88, v85, 0x2de8, v14
	v_add_f16_e32 v13, v13, v15
	v_fmamk_f16 v15, v8, 0x3bf7, v35
	v_fmac_f16_e32 v84, 0x3b29, v8
	v_add_f16_e32 v33, v34, v33
	v_add_f16_e32 v34, v88, v38
	v_mul_f16_e32 v38, 0x3a62, v87
	v_fma_f16 v14, v85, 0x2de8, -v14
	v_fmac_f16_e32 v35, 0xbbf7, v8
	v_add_f16_e32 v62, v15, v62
	v_mul_f16_e32 v15, 0xb8d2, v9
	v_add_f16_e32 v30, v84, v30
	v_fmamk_f16 v84, v85, 0xb8d2, v38
	v_add_f16_e32 v37, v14, v37
	v_add_f16_e32 v35, v35, v64
	v_mul_f16_e32 v14, 0xb5c8, v87
	v_fmamk_f16 v64, v8, 0xba62, v15
	v_add_f16_e32 v69, v84, v69
	v_fma_f16 v38, v85, 0xb8d2, -v38
	v_fmac_f16_e32 v15, 0x3a62, v8
	v_fmamk_f16 v84, v85, 0x3b76, v14
	v_add_f16_e32 v64, v64, v70
	v_mul_f16_e32 v70, 0x3b76, v9
	v_add_f16_e32 v36, v38, v36
	v_add_f16_e32 v38, v15, v74
	;; [unrolled: 1-line block ×3, first 2 shown]
	v_mul_f16_e32 v15, 0xb1e1, v87
	v_fmamk_f16 v74, v8, 0x35c8, v70
	v_fma_f16 v14, v85, 0x3b76, -v14
	v_mul_f16_e32 v84, 0xbbdd, v9
	v_fmac_f16_e32 v70, 0xb5c8, v8
	v_fmamk_f16 v88, v85, 0xbbdd, v15
	v_add_f16_e32 v74, v74, v75
	v_add_f16_e32 v71, v14, v71
	v_fmamk_f16 v14, v8, 0x31e1, v84
	v_mul_f16_e32 v75, 0x3964, v87
	v_fma_f16 v15, v85, 0xbbdd, -v15
	v_add_f16_e32 v70, v70, v72
	v_add_f16_e32 v72, v88, v78
	;; [unrolled: 1-line block ×3, first 2 shown]
	v_fmamk_f16 v80, v85, 0x39e9, v75
	v_add_f16_e32 v77, v15, v77
	v_mul_f16_e32 v15, 0xbbb2, v87
	v_fma_f16 v76, v92, 0xbbdd, -v76
	v_add_f16_e32 v83, v83, v90
	v_fmac_f16_e32 v84, 0xb1e1, v8
	v_mul_f16_e32 v14, 0x39e9, v9
	v_add_f16_e32 v80, v80, v81
	v_fmamk_f16 v81, v85, 0xb461, v15
	v_add_f16_e32 v76, v76, v86
	v_add_f16_e32 v86, v91, v89
	;; [unrolled: 1-line block ×3, first 2 shown]
	v_fmamk_f16 v84, v8, 0xb964, v14
	v_fma_f16 v75, v85, 0x39e9, -v75
	v_fmac_f16_e32 v14, 0x3964, v8
	v_mul_f16_e32 v9, 0xb461, v9
	v_add_f16_e32 v81, v81, v83
	v_sub_f16_e32 v83, v6, v7
	v_add_f16_e32 v6, v6, v7
	v_add_f16_e32 v82, v84, v82
	;; [unrolled: 1-line block ×4, first 2 shown]
	v_fmamk_f16 v14, v8, 0x3bb2, v9
	v_fma_f16 v15, v85, 0xb461, -v15
	v_add_f16_e32 v7, v4, v5
	v_mul_f16_e32 v84, 0xb1e1, v83
	v_fmac_f16_e32 v9, 0xbbb2, v8
	v_sub_f16_e32 v4, v4, v5
	v_mul_f16_e32 v5, 0xbbdd, v6
	v_add_f16_e32 v8, v14, v32
	v_fmamk_f16 v14, v7, 0xbbdd, v84
	v_add_f16_e32 v3, v15, v3
	v_add_f16_e32 v2, v9, v2
	v_fmamk_f16 v9, v4, 0x31e1, v5
	v_mul_f16_e32 v15, 0x35c8, v83
	v_fmac_f16_e32 v5, 0xb1e1, v4
	v_add_f16_e32 v85, v14, v12
	v_fma_f16 v12, v7, 0xbbdd, -v84
	v_add_f16_e32 v9, v9, v29
	v_fmamk_f16 v29, v7, 0x3b76, v15
	v_mul_f16_e32 v32, 0x3b76, v6
	v_add_f16_e32 v14, v5, v10
	v_mul_f16_e32 v5, 0xb836, v83
	v_add_f16_e32 v12, v12, v11
	v_add_f16_e32 v10, v29, v31
	v_fmamk_f16 v11, v4, 0xb5c8, v32
	v_fma_f16 v15, v7, 0x3b76, -v15
	v_fmac_f16_e32 v32, 0x35c8, v4
	v_fmamk_f16 v29, v7, 0xbacd, v5
	v_mul_f16_e32 v31, 0xbacd, v6
	v_fma_f16 v5, v7, 0xbacd, -v5
	v_add_f16_e32 v15, v15, v13
	v_add_f16_e32 v30, v32, v30
	;; [unrolled: 1-line block ×3, first 2 shown]
	v_fmamk_f16 v13, v4, 0x3836, v31
	v_mul_f16_e32 v32, 0x3964, v83
	v_fmac_f16_e32 v31, 0xb836, v4
	v_mul_f16_e32 v34, 0x39e9, v6
	v_add_f16_e32 v11, v11, v33
	v_add_f16_e32 v62, v13, v62
	v_fmamk_f16 v13, v7, 0x39e9, v32
	v_add_f16_e32 v29, v5, v37
	v_add_f16_e32 v33, v31, v35
	v_fmamk_f16 v5, v4, 0xb964, v34
	v_mul_f16_e32 v35, 0xba62, v83
	v_add_f16_e32 v37, v13, v69
	v_fma_f16 v13, v7, 0x39e9, -v32
	v_fmac_f16_e32 v34, 0x3964, v4
	v_add_f16_e32 v5, v5, v64
	v_fmamk_f16 v32, v7, 0xb8d2, v35
	v_mul_f16_e32 v64, 0xb8d2, v6
	v_add_f16_e32 v31, v13, v36
	v_add_f16_e32 v34, v34, v38
	v_mul_f16_e32 v36, 0x3b29, v83
	v_add_f16_e32 v38, v32, v73
	v_fmamk_f16 v13, v4, 0x3a62, v64
	v_fma_f16 v32, v7, 0xb8d2, -v35
	v_fmac_f16_e32 v64, 0xba62, v4
	v_fmamk_f16 v35, v7, 0x3722, v36
	v_mul_f16_e32 v69, 0x3722, v6
	v_add_f16_e32 v73, v13, v74
	v_add_f16_e32 v13, v32, v71
	;; [unrolled: 1-line block ×3, first 2 shown]
	v_mul_f16_e32 v70, 0xbbb2, v83
	v_fma_f16 v36, v7, 0x3722, -v36
	v_mul_f16_e32 v71, 0xb461, v6
	v_add_f16_e32 v35, v35, v72
	v_fmamk_f16 v64, v4, 0xbb29, v69
	v_fmamk_f16 v72, v7, 0xb461, v70
	v_add_f16_e32 v36, v36, v77
	v_fma_f16 v70, v7, 0xb461, -v70
	v_mul_f16_e32 v77, 0x3bf7, v83
	v_mul_f16_e32 v6, 0x2de8, v6
	v_fmamk_f16 v74, v4, 0x3bb2, v71
	v_add_f16_e32 v64, v64, v78
	v_add_f16_e32 v70, v70, v75
	v_fmac_f16_e32 v71, 0xbbb2, v4
	v_fmamk_f16 v75, v7, 0x2de8, v77
	v_fmamk_f16 v78, v4, 0xbbf7, v6
	v_fma_f16 v7, v7, 0x2de8, -v77
	v_fmac_f16_e32 v6, 0x3bf7, v4
	v_fmac_f16_e32 v69, 0x3b29, v4
	v_add_f16_e32 v72, v72, v80
	v_add_f16_e32 v74, v74, v82
	;; [unrolled: 1-line block ×7, first 2 shown]
	v_pack_b32_f16 v0, v0, v1
	v_pack_b32_f16 v1, v85, v9
	v_add_f16_e32 v69, v69, v79
	v_pack_b32_f16 v6, v10, v11
	v_pack_b32_f16 v7, v84, v62
	;; [unrolled: 1-line block ×6, first 2 shown]
	ds_write2_b32 v65, v0, v1 offset1:17
	ds_write2_b32 v65, v6, v7 offset0:34 offset1:51
	ds_write2_b32 v65, v5, v9 offset0:68 offset1:85
	;; [unrolled: 1-line block ×3, first 2 shown]
	v_pack_b32_f16 v0, v71, v8
	v_pack_b32_f16 v1, v3, v2
	;; [unrolled: 1-line block ×9, first 2 shown]
	ds_write2_b32 v65, v0, v1 offset0:136 offset1:153
	ds_write2_b32 v65, v2, v3 offset0:170 offset1:187
	;; [unrolled: 1-line block ×4, first 2 shown]
	ds_write_b32 v65, v8 offset:1088
	v_add_nc_u32_e32 v2, 0x1000, v43
	v_add_nc_u32_e32 v3, 0x1600, v43
	s_waitcnt lgkmcnt(0)
	s_barrier
	buffer_gl0_inv
	ds_read2_b32 v[0:1], v43 offset1:102
	ds_read2_b32 v[10:11], v41 offset0:33 offset1:135
	ds_read2_b32 v[8:9], v42 offset0:66 offset1:168
	;; [unrolled: 1-line block ×5, first 2 shown]
	s_and_saveexec_b32 s0, vcc_lo
	s_cbranch_execz .LBB0_7
; %bb.6:
	ds_read_b32 v13, v43 offset:816
	ds_read_b32 v31, v43 offset:1972
	ds_read_b32 v29, v43 offset:3128
	ds_read_b32 v15, v43 offset:4284
	ds_read_b32 v12, v43 offset:5440
	ds_read_b32 v39, v43 offset:6596
	s_waitcnt lgkmcnt(5)
	v_lshrrev_b32_e32 v32, 16, v13
	s_waitcnt lgkmcnt(4)
	v_lshrrev_b32_e32 v34, 16, v31
	;; [unrolled: 2-line block ×6, first 2 shown]
.LBB0_7:
	s_or_b32 exec_lo, exec_lo, s0
	s_waitcnt lgkmcnt(4)
	v_lshrrev_b32_e32 v36, 16, v10
	s_waitcnt lgkmcnt(3)
	v_lshrrev_b32_e32 v37, 16, v8
	;; [unrolled: 2-line block ×3, first 2 shown]
	v_mul_f16_sdwa v71, v24, v10 dst_sel:DWORD dst_unused:UNUSED_PAD src0_sel:WORD_1 src1_sel:DWORD
	s_waitcnt lgkmcnt(1)
	v_lshrrev_b32_e32 v41, 16, v4
	v_mul_f16_sdwa v69, v24, v36 dst_sel:DWORD dst_unused:UNUSED_PAD src0_sel:WORD_1 src1_sel:DWORD
	v_mul_f16_sdwa v73, v25, v37 dst_sel:DWORD dst_unused:UNUSED_PAD src0_sel:WORD_1 src1_sel:DWORD
	s_waitcnt lgkmcnt(0)
	v_lshrrev_b32_e32 v42, 16, v2
	v_lshrrev_b32_e32 v63, 16, v11
	;; [unrolled: 1-line block ×3, first 2 shown]
	v_fmac_f16_e32 v69, v24, v10
	v_mul_f16_sdwa v10, v25, v8 dst_sel:DWORD dst_unused:UNUSED_PAD src0_sel:WORD_1 src1_sel:DWORD
	v_fma_f16 v24, v24, v36, -v71
	v_mul_f16_sdwa v36, v26, v38 dst_sel:DWORD dst_unused:UNUSED_PAD src0_sel:WORD_1 src1_sel:DWORD
	v_fmac_f16_e32 v73, v25, v8
	v_mul_f16_sdwa v8, v26, v6 dst_sel:DWORD dst_unused:UNUSED_PAD src0_sel:WORD_1 src1_sel:DWORD
	v_fma_f16 v10, v25, v37, -v10
	v_mul_f16_sdwa v25, v27, v41 dst_sel:DWORD dst_unused:UNUSED_PAD src0_sel:WORD_1 src1_sel:DWORD
	;; [unrolled: 4-line block ×3, first 2 shown]
	v_lshrrev_b32_e32 v65, 16, v7
	v_fmac_f16_e32 v25, v27, v4
	v_mul_f16_sdwa v4, v68, v2 dst_sel:DWORD dst_unused:UNUSED_PAD src0_sel:WORD_1 src1_sel:DWORD
	v_fma_f16 v6, v27, v41, -v6
	v_mul_f16_sdwa v27, v20, v63 dst_sel:DWORD dst_unused:UNUSED_PAD src0_sel:WORD_1 src1_sel:DWORD
	v_fmac_f16_e32 v26, v68, v2
	v_mul_f16_sdwa v2, v20, v11 dst_sel:DWORD dst_unused:UNUSED_PAD src0_sel:WORD_1 src1_sel:DWORD
	v_lshrrev_b32_e32 v70, 16, v5
	v_mul_f16_sdwa v37, v21, v64 dst_sel:DWORD dst_unused:UNUSED_PAD src0_sel:WORD_1 src1_sel:DWORD
	v_fmac_f16_e32 v27, v20, v11
	v_mul_f16_sdwa v11, v21, v9 dst_sel:DWORD dst_unused:UNUSED_PAD src0_sel:WORD_1 src1_sel:DWORD
	v_fma_f16 v2, v20, v63, -v2
	v_mul_f16_sdwa v20, v22, v65 dst_sel:DWORD dst_unused:UNUSED_PAD src0_sel:WORD_1 src1_sel:DWORD
	v_lshrrev_b32_e32 v72, 16, v3
	v_fmac_f16_e32 v37, v21, v9
	v_mul_f16_sdwa v9, v22, v7 dst_sel:DWORD dst_unused:UNUSED_PAD src0_sel:WORD_1 src1_sel:DWORD
	v_fma_f16 v11, v21, v64, -v11
	v_mul_f16_sdwa v21, v23, v70 dst_sel:DWORD dst_unused:UNUSED_PAD src0_sel:WORD_1 src1_sel:DWORD
	v_fmac_f16_e32 v20, v22, v7
	v_mul_f16_sdwa v7, v23, v5 dst_sel:DWORD dst_unused:UNUSED_PAD src0_sel:WORD_1 src1_sel:DWORD
	v_fma_f16 v9, v22, v65, -v9
	v_mul_f16_sdwa v22, v67, v72 dst_sel:DWORD dst_unused:UNUSED_PAD src0_sel:WORD_1 src1_sel:DWORD
	v_fmac_f16_e32 v21, v23, v5
	v_lshrrev_b32_e32 v35, 16, v0
	v_fma_f16 v7, v23, v70, -v7
	v_add_f16_e32 v23, v73, v25
	v_fma_f16 v4, v68, v42, -v4
	v_mul_f16_sdwa v5, v67, v3 dst_sel:DWORD dst_unused:UNUSED_PAD src0_sel:WORD_1 src1_sel:DWORD
	v_fmac_f16_e32 v22, v67, v3
	v_add_f16_e32 v3, v0, v73
	v_add_f16_e32 v38, v10, v6
	v_fma_f16 v0, -0.5, v23, v0
	v_sub_f16_e32 v23, v10, v6
	v_add_f16_e32 v10, v35, v10
	v_add_f16_e32 v3, v3, v25
	v_fmac_f16_e32 v35, -0.5, v38
	v_sub_f16_e32 v25, v73, v25
	v_fmamk_f16 v38, v23, 0xbaee, v0
	v_fmac_f16_e32 v0, 0x3aee, v23
	v_add_f16_e32 v23, v8, v4
	v_add_f16_e32 v41, v36, v26
	;; [unrolled: 1-line block ×4, first 2 shown]
	v_fmamk_f16 v10, v25, 0x3aee, v35
	v_fmac_f16_e32 v24, -0.5, v23
	v_sub_f16_e32 v23, v36, v26
	v_add_f16_e32 v36, v69, v36
	v_fmac_f16_e32 v69, -0.5, v41
	v_sub_f16_e32 v8, v8, v4
	v_fmac_f16_e32 v35, 0xbaee, v25
	v_fmamk_f16 v25, v23, 0x3aee, v24
	v_fmac_f16_e32 v24, 0xbaee, v23
	v_add_f16_e32 v23, v36, v26
	v_fmamk_f16 v26, v8, 0xbaee, v69
	v_fmac_f16_e32 v69, 0x3aee, v8
	v_mul_f16_e32 v8, 0xbaee, v25
	v_add_f16_e32 v4, v42, v4
	v_mul_f16_e32 v25, 0.5, v25
	v_lshrrev_b32_e32 v62, 16, v1
	v_fma_f16 v5, v67, v72, -v5
	v_mul_f16_e32 v36, 0xbaee, v24
	v_add_f16_e32 v63, v6, v4
	v_fmac_f16_e32 v25, 0x3aee, v26
	v_sub_f16_e32 v4, v6, v4
	v_add_f16_e32 v6, v37, v21
	v_mul_f16_e32 v24, -0.5, v24
	v_add_f16_e32 v41, v3, v23
	v_add_f16_e32 v64, v10, v25
	v_sub_f16_e32 v3, v3, v23
	v_sub_f16_e32 v10, v10, v25
	v_add_f16_e32 v23, v1, v37
	v_add_f16_e32 v25, v11, v7
	v_fmac_f16_e32 v1, -0.5, v6
	v_sub_f16_e32 v6, v11, v7
	v_fmac_f16_e32 v36, -0.5, v69
	v_fmac_f16_e32 v24, 0x3aee, v69
	v_add_f16_e32 v11, v62, v11
	v_fmac_f16_e32 v62, -0.5, v25
	v_fmamk_f16 v25, v6, 0xbaee, v1
	v_fmac_f16_e32 v1, 0x3aee, v6
	v_add_f16_e32 v6, v9, v5
	v_add_f16_e32 v42, v0, v36
	;; [unrolled: 1-line block ×3, first 2 shown]
	v_sub_f16_e32 v0, v0, v36
	v_sub_f16_e32 v24, v35, v24
	v_add_f16_e32 v23, v23, v21
	v_sub_f16_e32 v21, v37, v21
	v_add_f16_e32 v35, v20, v22
	v_add_f16_e32 v36, v2, v9
	v_fmac_f16_e32 v2, -0.5, v6
	v_sub_f16_e32 v6, v20, v22
	v_add_f16_e32 v7, v11, v7
	v_fmamk_f16 v11, v21, 0x3aee, v62
	v_add_f16_e32 v20, v27, v20
	v_fmac_f16_e32 v27, -0.5, v35
	v_sub_f16_e32 v9, v9, v5
	v_fmac_f16_e32 v62, 0xbaee, v21
	v_fmamk_f16 v21, v6, 0x3aee, v2
	v_fmac_f16_e32 v2, 0xbaee, v6
	v_fmac_f16_e32 v8, 0.5, v26
	v_add_f16_e32 v6, v20, v22
	v_fmamk_f16 v20, v9, 0xbaee, v27
	v_fmac_f16_e32 v27, 0x3aee, v9
	v_mul_f16_e32 v9, 0xbaee, v21
	v_mul_f16_e32 v22, 0xbaee, v2
	v_mul_f16_e32 v21, 0.5, v21
	v_mul_f16_e32 v2, -0.5, v2
	v_add_f16_e32 v5, v36, v5
	v_add_f16_e32 v26, v38, v8
	v_fmac_f16_e32 v9, 0.5, v20
	v_fmac_f16_e32 v22, -0.5, v27
	v_fmac_f16_e32 v21, 0x3aee, v20
	v_fmac_f16_e32 v2, 0x3aee, v27
	v_sub_f16_e32 v8, v38, v8
	v_add_f16_e32 v35, v23, v6
	v_add_f16_e32 v36, v7, v5
	;; [unrolled: 1-line block ×5, first 2 shown]
	v_sub_f16_e32 v1, v1, v22
	v_pack_b32_f16 v22, v26, v64
	v_sub_f16_e32 v5, v7, v5
	v_sub_f16_e32 v7, v11, v21
	v_pack_b32_f16 v21, v42, v65
	v_add_f16_e32 v38, v62, v2
	v_pack_b32_f16 v3, v3, v4
	v_sub_f16_e32 v6, v23, v6
	v_pack_b32_f16 v4, v8, v10
	v_sub_f16_e32 v9, v25, v9
	;; [unrolled: 2-line block ×3, first 2 shown]
	v_pack_b32_f16 v11, v41, v63
	v_pack_b32_f16 v8, v35, v36
	ds_write_b32 v43, v22 offset:1156
	ds_write_b32 v43, v21 offset:2312
	;; [unrolled: 1-line block ×5, first 2 shown]
	ds_write2_b32 v43, v11, v8 offset1:102
	v_pack_b32_f16 v0, v20, v37
	v_pack_b32_f16 v3, v27, v38
	;; [unrolled: 1-line block ×5, first 2 shown]
	ds_write_b32 v43, v0 offset:1564
	ds_write_b32 v43, v3 offset:2720
	;; [unrolled: 1-line block ×5, first 2 shown]
	s_and_saveexec_b32 s0, vcc_lo
	s_cbranch_execz .LBB0_9
; %bb.8:
	v_mul_f16_sdwa v3, v18, v15 dst_sel:DWORD dst_unused:UNUSED_PAD src0_sel:WORD_1 src1_sel:DWORD
	v_mul_f16_sdwa v4, v66, v39 dst_sel:DWORD dst_unused:UNUSED_PAD src0_sel:WORD_1 src1_sel:DWORD
	;; [unrolled: 1-line block ×7, first 2 shown]
	v_fma_f16 v3, v18, v30, -v3
	v_fma_f16 v4, v66, v40, -v4
	;; [unrolled: 1-line block ×4, first 2 shown]
	v_fmac_f16_e32 v2, v18, v15
	v_fmac_f16_e32 v5, v66, v39
	v_fma_f16 v6, v16, v34, -v6
	v_add_f16_e32 v9, v3, v4
	v_mul_f16_sdwa v10, v17, v33 dst_sel:DWORD dst_unused:UNUSED_PAD src0_sel:WORD_1 src1_sel:DWORD
	v_mul_f16_sdwa v11, v19, v14 dst_sel:DWORD dst_unused:UNUSED_PAD src0_sel:WORD_1 src1_sel:DWORD
	v_add_f16_e32 v7, v0, v1
	v_mul_f16_sdwa v8, v16, v34 dst_sel:DWORD dst_unused:UNUSED_PAD src0_sel:WORD_1 src1_sel:DWORD
	v_fma_f16 v9, -0.5, v9, v6
	v_sub_f16_e32 v15, v2, v5
	v_fmac_f16_e32 v10, v17, v29
	v_fmac_f16_e32 v11, v19, v12
	;; [unrolled: 1-line block ×3, first 2 shown]
	v_fma_f16 v7, -0.5, v7, v32
	v_fmamk_f16 v16, v15, 0xbaee, v9
	v_fmac_f16_e32 v9, 0x3aee, v15
	v_sub_f16_e32 v15, v10, v11
	v_add_f16_e32 v14, v2, v5
	v_add_f16_e32 v2, v8, v2
	v_mul_f16_e32 v18, -0.5, v16
	v_fmamk_f16 v19, v15, 0xbaee, v7
	v_fmac_f16_e32 v7, 0x3aee, v15
	v_add_f16_e32 v15, v32, v0
	v_fma_f16 v12, -0.5, v14, v8
	v_sub_f16_e32 v14, v3, v4
	v_add_f16_e32 v3, v6, v3
	v_add_f16_e32 v6, v10, v11
	;; [unrolled: 1-line block ×3, first 2 shown]
	v_sub_f16_e32 v0, v0, v1
	v_add_f16_e32 v1, v13, v10
	v_fmamk_f16 v17, v14, 0x3aee, v12
	v_fmac_f16_e32 v12, 0xbaee, v14
	v_mul_f16_e32 v14, 0.5, v9
	v_add_f16_e32 v3, v3, v4
	v_fma_f16 v4, -0.5, v6, v13
	v_add_f16_e32 v1, v1, v11
	v_add_f16_e32 v2, v2, v5
	v_mul_f16_e32 v5, 0xbaee, v9
	v_mul_f16_e32 v8, 0xbaee, v16
	v_fmac_f16_e32 v14, 0x3aee, v12
	v_sub_f16_e32 v6, v15, v3
	v_fmamk_f16 v10, v0, 0x3aee, v4
	v_fmac_f16_e32 v4, 0xbaee, v0
	v_add_f16_e32 v0, v15, v3
	v_add_f16_e32 v3, v1, v2
	v_fmac_f16_e32 v5, 0.5, v12
	v_fmac_f16_e32 v18, 0x3aee, v17
	v_fmac_f16_e32 v8, -0.5, v17
	v_sub_f16_e32 v21, v7, v14
	v_add_f16_e32 v7, v7, v14
	v_pack_b32_f16 v0, v3, v0
	v_add_f16_e32 v3, v4, v5
	v_sub_f16_e32 v9, v10, v8
	v_add_f16_e32 v11, v19, v18
	v_add_f16_e32 v8, v10, v8
	v_sub_f16_e32 v1, v1, v2
	v_sub_f16_e32 v2, v4, v5
	v_sub_f16_e32 v20, v19, v18
	ds_write_b32 v43, v0 offset:816
	v_pack_b32_f16 v0, v3, v7
	v_pack_b32_f16 v3, v8, v11
	;; [unrolled: 1-line block ×5, first 2 shown]
	ds_write_b32 v43, v0 offset:1972
	ds_write_b32 v43, v3 offset:3128
	ds_write_b32 v43, v1 offset:4284
	ds_write_b32 v43, v2 offset:5440
	ds_write_b32 v43, v4 offset:6596
.LBB0_9:
	s_or_b32 exec_lo, exec_lo, s0
	s_waitcnt lgkmcnt(0)
	s_barrier
	buffer_gl0_inv
	ds_read2_b32 v[0:1], v43 offset1:102
	v_add_nc_u32_e32 v2, 0x200, v43
	s_mov_b32 s6, 0x8b5e3104
	s_mov_b32 s7, 0x3f42e5b8
	s_mul_i32 s3, s8, 0x198
	ds_read2_b32 v[2:3], v2 offset0:76 offset1:178
	s_waitcnt lgkmcnt(1)
	v_lshrrev_b32_e32 v4, 16, v0
	v_mul_f16_sdwa v5, v61, v0 dst_sel:DWORD dst_unused:UNUSED_PAD src0_sel:WORD_1 src1_sel:DWORD
	v_lshrrev_b32_e32 v6, 16, v1
	v_mul_f16_sdwa v7, v60, v1 dst_sel:DWORD dst_unused:UNUSED_PAD src0_sel:WORD_1 src1_sel:DWORD
	v_mul_f16_sdwa v8, v61, v4 dst_sel:DWORD dst_unused:UNUSED_PAD src0_sel:WORD_1 src1_sel:DWORD
	v_fma_f16 v4, v61, v4, -v5
	v_mul_f16_sdwa v12, v60, v6 dst_sel:DWORD dst_unused:UNUSED_PAD src0_sel:WORD_1 src1_sel:DWORD
	v_fma_f16 v5, v60, v6, -v7
	s_waitcnt lgkmcnt(0)
	v_lshrrev_b32_e32 v19, 16, v2
	v_fmac_f16_e32 v8, v61, v0
	v_cvt_f32_f16_e32 v0, v4
	v_fmac_f16_e32 v12, v60, v1
	v_cvt_f32_f16_e32 v9, v5
	v_mul_f16_sdwa v14, v59, v19 dst_sel:DWORD dst_unused:UNUSED_PAD src0_sel:WORD_1 src1_sel:DWORD
	v_cvt_f32_f16_e32 v10, v8
	v_cvt_f64_f32_e32 v[4:5], v0
	v_cvt_f32_f16_e32 v12, v12
	v_cvt_f64_f32_e32 v[8:9], v9
	v_mad_u64_u32 v[6:7], null, s10, v28, 0
	v_cvt_f64_f32_e32 v[0:1], v10
	v_cvt_f64_f32_e32 v[12:13], v12
	v_fmac_f16_e32 v14, v59, v2
	v_mad_u64_u32 v[10:11], null, s8, v58, 0
	v_mul_f16_sdwa v2, v59, v2 dst_sel:DWORD dst_unused:UNUSED_PAD src0_sel:WORD_1 src1_sel:DWORD
	v_cvt_f32_f16_e32 v16, v14
	v_fma_f16 v2, v59, v19, -v2
	v_cvt_f32_f16_e32 v2, v2
	v_mul_f64 v[4:5], v[4:5], s[6:7]
	v_mad_u64_u32 v[14:15], null, s11, v28, v[7:8]
	v_mul_f64 v[8:9], v[8:9], s[6:7]
	v_mul_f64 v[0:1], v[0:1], s[6:7]
	v_mad_u64_u32 v[17:18], null, s9, v58, v[11:12]
	v_mul_f64 v[12:13], v[12:13], s[6:7]
	v_cvt_f64_f32_e32 v[15:16], v16
	v_mov_b32_e32 v7, v14
	v_mov_b32_e32 v11, v17
	v_lshlrev_b64 v[6:7], 2, v[6:7]
	v_add_co_u32 v14, vcc_lo, s4, v6
	v_and_or_b32 v4, 0x1ff, v5, v4
	v_add_co_ci_u32_e32 v17, vcc_lo, s5, v7, vcc_lo
	v_and_or_b32 v8, 0x1ff, v9, v8
	v_and_or_b32 v0, 0x1ff, v1, v0
	v_cmp_ne_u32_e32 vcc_lo, 0, v4
	v_lshrrev_b32_e32 v20, 8, v1
	v_bfe_u32 v21, v1, 20, 11
	v_and_or_b32 v12, 0x1ff, v13, v12
	v_mul_f64 v[6:7], v[15:16], s[6:7]
	v_cndmask_b32_e64 v4, 0, 1, vcc_lo
	v_cmp_ne_u32_e32 vcc_lo, 0, v8
	v_lshrrev_b32_e32 v15, 8, v5
	v_bfe_u32 v16, v5, 20, 11
	v_bfe_u32 v19, v9, 20, 11
	v_sub_nc_u32_e32 v26, 0x3f1, v21
	v_cndmask_b32_e64 v8, 0, 1, vcc_lo
	v_cmp_ne_u32_e32 vcc_lo, 0, v0
	v_lshrrev_b32_e32 v18, 8, v9
	v_sub_nc_u32_e32 v22, 0x3f1, v16
	v_lshrrev_b32_e32 v23, 8, v13
	v_sub_nc_u32_e32 v25, 0x3f1, v19
	v_cndmask_b32_e64 v0, 0, 1, vcc_lo
	v_cmp_ne_u32_e32 vcc_lo, 0, v12
	v_and_or_b32 v4, 0xffe, v15, v4
	v_add_nc_u32_e32 v16, 0xfffffc10, v16
	v_med3_i32 v15, v22, 0, 13
	v_and_or_b32 v0, 0xffe, v20, v0
	v_cndmask_b32_e64 v12, 0, 1, vcc_lo
	v_med3_i32 v20, v26, 0, 13
	v_and_or_b32 v8, 0xffe, v18, v8
	v_med3_i32 v18, v25, 0, 13
	v_or_b32_e32 v26, 0x1000, v0
	v_or_b32_e32 v25, 0x1000, v4
	v_cmp_ne_u32_e32 vcc_lo, 0, v4
	v_and_or_b32 v12, 0xffe, v23, v12
	v_add_nc_u32_e32 v21, 0xfffffc10, v21
	v_lshrrev_b32_e32 v23, v20, v26
	v_lshl_or_b32 v27, v16, 12, v4
	v_cndmask_b32_e64 v4, 0, 1, vcc_lo
	v_lshrrev_b32_e32 v28, v15, v25
	v_cmp_ne_u32_e32 vcc_lo, 0, v0
	v_lshlrev_b32_e32 v20, v20, v23
	v_bfe_u32 v24, v13, 20, 11
	v_lshl_or_b32 v30, v21, 12, v0
	v_lshlrev_b32_e32 v15, v15, v28
	v_cndmask_b32_e64 v0, 0, 1, vcc_lo
	v_cmp_ne_u32_e32 vcc_lo, v20, v26
	v_sub_nc_u32_e32 v22, 0x3f1, v24
	v_or_b32_e32 v31, 0x1000, v12
	v_add_nc_u32_e32 v24, 0xfffffc10, v24
	v_lshl_or_b32 v0, v0, 9, 0x7c00
	v_cndmask_b32_e64 v20, 0, 1, vcc_lo
	v_cmp_ne_u32_e32 vcc_lo, v15, v25
	v_med3_i32 v22, v22, 0, 13
	v_lshrrev_b32_e32 v1, 16, v1
	v_lshl_or_b32 v4, v4, 9, 0x7c00
	v_or_b32_e32 v20, v23, v20
	v_cndmask_b32_e64 v15, 0, 1, vcc_lo
	v_cmp_gt_i32_e32 vcc_lo, 1, v21
	v_lshrrev_b32_e32 v25, v22, v31
	v_lshl_or_b32 v23, v24, 12, v12
	v_or_b32_e32 v29, 0x1000, v8
	v_or_b32_e32 v15, v28, v15
	v_cndmask_b32_e32 v20, v30, v20, vcc_lo
	v_cmp_gt_i32_e32 vcc_lo, 1, v16
	v_lshlrev_b32_e32 v22, v22, v25
	v_lshrrev_b32_e32 v5, 16, v5
	v_add_nc_u32_e32 v19, 0xfffffc10, v19
	v_and_b32_e32 v26, 7, v20
	v_cndmask_b32_e32 v15, v27, v15, vcc_lo
	v_cmp_ne_u32_e32 vcc_lo, v22, v31
	v_lshrrev_b32_e32 v20, 2, v20
	v_lshrrev_b32_e32 v27, v18, v29
	v_cmp_eq_u32_e64 s0, 3, v26
	v_and_b32_e32 v28, 7, v15
	v_cndmask_b32_e64 v22, 0, 1, vcc_lo
	v_cmp_lt_i32_e32 vcc_lo, 5, v26
	v_lshrrev_b32_e32 v15, 2, v15
	v_lshlrev_b32_e32 v18, v18, v27
	v_cmp_lt_i32_e64 s1, 5, v28
	v_cmp_eq_u32_e64 s2, 3, v28
	s_or_b32 vcc_lo, s0, vcc_lo
	v_or_b32_e32 v22, v25, v22
	v_add_co_ci_u32_e32 v20, vcc_lo, 0, v20, vcc_lo
	s_or_b32 vcc_lo, s2, s1
	v_cmp_ne_u32_e64 s1, v18, v29
	v_add_co_ci_u32_e32 v15, vcc_lo, 0, v15, vcc_lo
	v_cmp_gt_i32_e32 vcc_lo, 31, v21
	v_and_or_b32 v6, 0x1ff, v7, v6
	v_lshrrev_b32_e32 v18, 16, v9
	s_mul_hi_u32 s2, s8, 0x198
	v_cndmask_b32_e32 v20, 0x7c00, v20, vcc_lo
	v_cmp_gt_i32_e32 vcc_lo, 1, v24
	v_cndmask_b32_e32 v22, v23, v22, vcc_lo
	v_cmp_gt_i32_e32 vcc_lo, 31, v16
	v_cndmask_b32_e32 v15, 0x7c00, v15, vcc_lo
	v_cmp_eq_u32_e32 vcc_lo, 0x40f, v21
	v_cndmask_b32_e32 v0, v20, v0, vcc_lo
	v_cmp_eq_u32_e32 vcc_lo, 0x40f, v16
	v_and_b32_e32 v20, 7, v22
	v_and_or_b32 v0, 0x8000, v1, v0
	v_cndmask_b32_e32 v4, v15, v4, vcc_lo
	v_cmp_lt_i32_e32 vcc_lo, 5, v20
	v_cmp_eq_u32_e64 s0, 3, v20
	v_lshrrev_b32_e32 v1, 2, v22
	v_and_b32_e32 v0, 0xffff, v0
	v_and_or_b32 v4, 0x8000, v5, v4
	v_cndmask_b32_e64 v5, 0, 1, s1
	s_or_b32 vcc_lo, s0, vcc_lo
	v_cmp_ne_u32_e64 s1, 0, v6
	v_add_co_ci_u32_e32 v15, vcc_lo, 0, v1, vcc_lo
	v_lshl_or_b32 v16, v4, 16, v0
	v_cvt_f64_f32_e32 v[0:1], v2
	v_cmp_ne_u32_e32 vcc_lo, 0, v12
	v_or_b32_e32 v4, v27, v5
	v_lshl_or_b32 v5, v19, 12, v8
	v_cndmask_b32_e64 v6, 0, 1, s1
	v_cndmask_b32_e64 v2, 0, 1, vcc_lo
	v_cmp_gt_i32_e32 vcc_lo, 31, v24
	v_lshl_or_b32 v2, v2, 9, 0x7c00
	v_cndmask_b32_e32 v12, 0x7c00, v15, vcc_lo
	v_cmp_gt_i32_e32 vcc_lo, 1, v19
	v_cndmask_b32_e32 v15, v5, v4, vcc_lo
	v_lshlrev_b64 v[4:5], 2, v[10:11]
	v_cmp_eq_u32_e32 vcc_lo, 0x40f, v24
	v_lshrrev_b32_e32 v10, 16, v13
	v_mul_f64 v[0:1], v[0:1], s[6:7]
	v_and_b32_e32 v11, 7, v15
	v_lshrrev_b32_e32 v13, 16, v3
	v_cndmask_b32_e32 v2, v12, v2, vcc_lo
	v_add_co_u32 v4, vcc_lo, v14, v4
	v_add_co_ci_u32_e32 v5, vcc_lo, v17, v5, vcc_lo
	v_cmp_lt_i32_e32 vcc_lo, 5, v11
	v_cmp_eq_u32_e64 s0, 3, v11
	v_and_or_b32 v2, 0x8000, v10, v2
	v_lshrrev_b32_e32 v10, 2, v15
	v_lshrrev_b32_e32 v11, 8, v7
	v_bfe_u32 v12, v7, 20, 11
	s_or_b32 vcc_lo, s0, vcc_lo
	v_mul_f16_sdwa v14, v57, v13 dst_sel:DWORD dst_unused:UNUSED_PAD src0_sel:WORD_1 src1_sel:DWORD
	v_add_co_ci_u32_e32 v10, vcc_lo, 0, v10, vcc_lo
	v_and_or_b32 v6, 0xffe, v11, v6
	v_sub_nc_u32_e32 v11, 0x3f1, v12
	v_cmp_ne_u32_e32 vcc_lo, 0, v8
	v_fmac_f16_e32 v14, v57, v3
	v_and_or_b32 v0, 0x1ff, v1, v0
	v_or_b32_e32 v15, 0x1000, v6
	v_med3_i32 v11, v11, 0, 13
	v_cndmask_b32_e64 v8, 0, 1, vcc_lo
	v_cmp_gt_i32_e32 vcc_lo, 31, v19
	v_cvt_f32_f16_e32 v14, v14
	v_add_nc_u32_e32 v12, 0xfffffc10, v12
	v_lshrrev_b32_e32 v17, v11, v15
	v_lshl_or_b32 v8, v8, 9, 0x7c00
	v_cndmask_b32_e32 v10, 0x7c00, v10, vcc_lo
	v_cmp_eq_u32_e32 vcc_lo, 0x40f, v19
	v_bfe_u32 v19, v1, 20, 11
	v_lshlrev_b32_e32 v11, v11, v17
	v_and_b32_e32 v2, 0xffff, v2
	v_mul_f16_sdwa v3, v57, v3 dst_sel:DWORD dst_unused:UNUSED_PAD src0_sel:WORD_1 src1_sel:DWORD
	v_cndmask_b32_e32 v10, v10, v8, vcc_lo
	v_cmp_ne_u32_e32 vcc_lo, 0, v0
	v_cvt_f64_f32_e32 v[8:9], v14
	v_lshrrev_b32_e32 v14, 8, v1
	s_mul_i32 s0, s9, 0x198
	v_and_or_b32 v10, 0x8000, v18, v10
	v_cndmask_b32_e64 v0, 0, 1, vcc_lo
	v_cmp_ne_u32_e32 vcc_lo, v11, v15
	v_lshl_or_b32 v15, v12, 12, v6
	s_add_i32 s2, s2, s0
	v_lshl_or_b32 v18, v10, 16, v2
	v_and_or_b32 v0, 0xffe, v14, v0
	v_cndmask_b32_e64 v11, 0, 1, vcc_lo
	v_sub_nc_u32_e32 v14, 0x3f1, v19
	v_cmp_gt_i32_e32 vcc_lo, 1, v12
	v_fma_f16 v3, v57, v13, -v3
	v_add_nc_u32_e32 v13, 0xfffffc10, v19
	v_or_b32_e32 v11, v17, v11
	v_or_b32_e32 v17, 0x1000, v0
	v_med3_i32 v14, v14, 0, 13
	v_cvt_f32_f16_e32 v3, v3
	v_lshrrev_b32_e32 v7, 16, v7
	v_cndmask_b32_e32 v11, v15, v11, vcc_lo
	v_lshrrev_b32_e32 v1, 16, v1
	v_lshrrev_b32_e32 v2, v14, v17
	v_mul_f64 v[8:9], v[8:9], s[6:7]
	global_store_dword v[4:5], v16, off
	v_and_b32_e32 v10, 7, v11
	v_lshlrev_b32_e32 v14, v14, v2
	v_cmp_lt_i32_e32 vcc_lo, 5, v10
	v_cmp_eq_u32_e64 s0, 3, v10
	v_lshrrev_b32_e32 v10, 2, v11
	v_cmp_ne_u32_e64 s1, v14, v17
	v_lshl_or_b32 v14, v13, 12, v0
	s_or_b32 vcc_lo, s0, vcc_lo
	v_cndmask_b32_e64 v11, 0, 1, s1
	v_add_co_ci_u32_e32 v10, vcc_lo, 0, v10, vcc_lo
	v_cmp_ne_u32_e32 vcc_lo, 0, v6
	v_or_b32_e32 v11, v2, v11
	v_cvt_f64_f32_e32 v[2:3], v3
	v_and_or_b32 v8, 0x1ff, v9, v8
	v_cndmask_b32_e64 v6, 0, 1, vcc_lo
	v_cmp_gt_i32_e32 vcc_lo, 1, v13
	v_lshrrev_b32_e32 v15, 8, v9
	v_lshl_or_b32 v6, v6, 9, 0x7c00
	v_cndmask_b32_e32 v11, v14, v11, vcc_lo
	v_cmp_gt_i32_e32 vcc_lo, 31, v12
	v_and_b32_e32 v14, 7, v11
	v_cndmask_b32_e32 v10, 0x7c00, v10, vcc_lo
	v_cmp_ne_u32_e32 vcc_lo, 0, v8
	v_cmp_eq_u32_e64 s0, 3, v14
	v_cndmask_b32_e64 v8, 0, 1, vcc_lo
	v_cmp_eq_u32_e32 vcc_lo, 0x40f, v12
	v_bfe_u32 v12, v9, 20, 11
	v_mul_f64 v[2:3], v[2:3], s[6:7]
	v_lshrrev_b32_e32 v9, 16, v9
	v_and_or_b32 v8, 0xffe, v15, v8
	v_cndmask_b32_e32 v6, v10, v6, vcc_lo
	v_cmp_lt_i32_e32 vcc_lo, 5, v14
	v_add_nc_u32_e32 v10, 0x400, v43
	v_lshrrev_b32_e32 v15, 2, v11
	v_sub_nc_u32_e32 v14, 0x3f1, v12
	v_or_b32_e32 v17, 0x1000, v8
	s_or_b32 vcc_lo, s0, vcc_lo
	ds_read2_b32 v[10:11], v10 offset0:152 offset1:254
	v_add_co_ci_u32_e32 v15, vcc_lo, 0, v15, vcc_lo
	v_med3_i32 v14, v14, 0, 13
	v_cmp_ne_u32_e32 vcc_lo, 0, v0
	v_and_or_b32 v6, 0x8000, v7, v6
	v_lshrrev_b32_e32 v19, v14, v17
	v_cndmask_b32_e64 v0, 0, 1, vcc_lo
	v_cmp_gt_i32_e32 vcc_lo, 31, v13
	v_and_or_b32 v2, 0x1ff, v3, v2
	v_lshlrev_b32_e32 v14, v14, v19
	v_lshl_or_b32 v0, v0, 9, 0x7c00
	v_cndmask_b32_e32 v15, 0x7c00, v15, vcc_lo
	v_cmp_eq_u32_e32 vcc_lo, 0x40f, v13
	s_waitcnt lgkmcnt(0)
	v_lshrrev_b32_e32 v13, 16, v10
	v_cndmask_b32_e32 v0, v15, v0, vcc_lo
	v_cmp_ne_u32_e32 vcc_lo, v14, v17
	v_add_nc_u32_e32 v17, 0xfffffc10, v12
	v_lshrrev_b32_e32 v14, 8, v3
	v_bfe_u32 v15, v3, 20, 11
	v_and_or_b32 v12, 0x8000, v1, v0
	v_cndmask_b32_e64 v7, 0, 1, vcc_lo
	v_cmp_ne_u32_e32 vcc_lo, 0, v2
	v_mul_f16_sdwa v1, v56, v13 dst_sel:DWORD dst_unused:UNUSED_PAD src0_sel:WORD_1 src1_sel:DWORD
	v_lshrrev_b32_e32 v3, 16, v3
	v_or_b32_e32 v0, v19, v7
	v_lshl_or_b32 v7, v17, 12, v8
	v_cndmask_b32_e64 v2, 0, 1, vcc_lo
	v_cmp_gt_i32_e32 vcc_lo, 1, v17
	v_fmac_f16_e32 v1, v56, v10
	v_mul_f16_sdwa v10, v56, v10 dst_sel:DWORD dst_unused:UNUSED_PAD src0_sel:WORD_1 src1_sel:DWORD
	v_and_or_b32 v2, 0xffe, v14, v2
	v_cndmask_b32_e32 v19, v7, v0, vcc_lo
	v_cvt_f32_f16_e32 v0, v1
	v_sub_nc_u32_e32 v7, 0x3f1, v15
	v_and_b32_e32 v14, 0xffff, v6
	v_add_co_u32 v6, vcc_lo, v4, s3
	v_and_b32_e32 v20, 7, v19
	v_or_b32_e32 v21, 0x1000, v2
	v_cvt_f64_f32_e32 v[0:1], v0
	v_med3_i32 v22, v7, 0, 13
	v_add_co_ci_u32_e32 v7, vcc_lo, s2, v5, vcc_lo
	v_cmp_lt_i32_e32 vcc_lo, 5, v20
	v_cmp_eq_u32_e64 s0, 3, v20
	v_lshl_or_b32 v20, v12, 16, v14
	v_lshrrev_b32_e32 v12, 2, v19
	v_lshrrev_b32_e32 v23, v22, v21
	v_fma_f16 v10, v56, v13, -v10
	s_or_b32 vcc_lo, s0, vcc_lo
	v_add_nc_u32_e32 v19, 0xfffffc10, v15
	v_add_co_ci_u32_e32 v12, vcc_lo, 0, v12, vcc_lo
	v_lshlrev_b32_e32 v14, v22, v23
	v_cmp_ne_u32_e32 vcc_lo, 0, v8
	v_cvt_f32_f16_e32 v10, v10
	v_lshl_or_b32 v22, v19, 12, v2
	v_cndmask_b32_e64 v8, 0, 1, vcc_lo
	v_cmp_ne_u32_e32 vcc_lo, v14, v21
	v_mul_f64 v[0:1], v[0:1], s[6:7]
	v_lshl_or_b32 v8, v8, 9, 0x7c00
	v_cndmask_b32_e64 v14, 0, 1, vcc_lo
	v_cmp_gt_i32_e32 vcc_lo, 31, v17
	v_cndmask_b32_e32 v21, 0x7c00, v12, vcc_lo
	v_cvt_f64_f32_e32 v[12:13], v10
	v_or_b32_e32 v10, v23, v14
	v_add_co_u32 v14, vcc_lo, v6, s3
	v_add_co_ci_u32_e32 v15, vcc_lo, s2, v7, vcc_lo
	v_cmp_gt_i32_e32 vcc_lo, 1, v19
	global_store_dword v[6:7], v18, off
	global_store_dword v[14:15], v20, off
	v_cndmask_b32_e32 v10, v22, v10, vcc_lo
	v_cmp_eq_u32_e32 vcc_lo, 0x40f, v17
	v_and_or_b32 v0, 0x1ff, v1, v0
	v_lshrrev_b32_e32 v7, 8, v1
	v_and_b32_e32 v4, 7, v10
	v_cndmask_b32_e32 v8, v21, v8, vcc_lo
	v_cmp_ne_u32_e64 s1, 0, v0
	v_lshrrev_b32_e32 v6, 2, v10
	v_lshrrev_b32_e32 v10, 16, v11
	v_cmp_lt_i32_e32 vcc_lo, 5, v4
	v_cmp_eq_u32_e64 s0, 3, v4
	v_mul_f64 v[4:5], v[12:13], s[6:7]
	v_and_or_b32 v8, 0x8000, v9, v8
	v_cndmask_b32_e64 v0, 0, 1, s1
	v_bfe_u32 v9, v1, 20, 11
	s_or_b32 vcc_lo, s0, vcc_lo
	v_mul_f16_sdwa v12, v54, v10 dst_sel:DWORD dst_unused:UNUSED_PAD src0_sel:WORD_1 src1_sel:DWORD
	v_add_co_ci_u32_e32 v6, vcc_lo, 0, v6, vcc_lo
	v_and_or_b32 v0, 0xffe, v7, v0
	v_sub_nc_u32_e32 v7, 0x3f1, v9
	v_cmp_ne_u32_e32 vcc_lo, 0, v2
	v_fmac_f16_e32 v12, v54, v11
	v_mul_f16_sdwa v11, v54, v11 dst_sel:DWORD dst_unused:UNUSED_PAD src0_sel:WORD_1 src1_sel:DWORD
	v_or_b32_e32 v13, 0x1000, v0
	v_med3_i32 v7, v7, 0, 13
	v_cndmask_b32_e64 v2, 0, 1, vcc_lo
	v_cmp_gt_i32_e32 vcc_lo, 31, v19
	v_cvt_f32_f16_e32 v12, v12
	v_fma_f16 v10, v54, v10, -v11
	v_lshrrev_b32_e32 v16, v7, v13
	v_lshl_or_b32 v2, v2, 9, 0x7c00
	v_cndmask_b32_e32 v6, 0x7c00, v6, vcc_lo
	v_and_or_b32 v4, 0x1ff, v5, v4
	v_cmp_eq_u32_e32 vcc_lo, 0x40f, v19
	v_lshlrev_b32_e32 v17, v7, v16
	v_bfe_u32 v18, v5, 20, 11
	v_and_b32_e32 v8, 0xffff, v8
	v_cndmask_b32_e32 v2, v6, v2, vcc_lo
	v_cmp_ne_u32_e32 vcc_lo, 0, v4
	v_cvt_f64_f32_e32 v[6:7], v12
	v_lshrrev_b32_e32 v12, 8, v5
	v_lshrrev_b32_e32 v5, 16, v5
	v_cndmask_b32_e64 v4, 0, 1, vcc_lo
	v_cmp_ne_u32_e32 vcc_lo, v17, v13
	v_add_nc_u32_e32 v17, 0xfffffc10, v9
	v_sub_nc_u32_e32 v9, 0x3f1, v18
	v_and_or_b32 v4, 0xffe, v12, v4
	v_cndmask_b32_e64 v13, 0, 1, vcc_lo
	v_cmp_gt_i32_e32 vcc_lo, 1, v17
	v_med3_i32 v9, v9, 0, 13
	v_or_b32_e32 v12, v16, v13
	v_lshl_or_b32 v13, v17, 12, v0
	v_or_b32_e32 v16, 0x1000, v4
	v_cndmask_b32_e32 v12, v13, v12, vcc_lo
	v_and_or_b32 v13, 0x8000, v3, v2
	v_lshrrev_b32_e32 v11, v9, v16
	v_mul_f64 v[2:3], v[6:7], s[6:7]
	v_cvt_f32_f16_e32 v6, v10
	v_and_b32_e32 v19, 7, v12
	v_lshl_or_b32 v20, v13, 16, v8
	v_lshlrev_b32_e32 v8, v9, v11
	v_lshrrev_b32_e32 v9, 2, v12
	v_cvt_f64_f32_e32 v[6:7], v6
	v_cmp_lt_i32_e32 vcc_lo, 5, v19
	v_cmp_eq_u32_e64 s0, 3, v19
	v_cmp_ne_u32_e64 s1, v8, v16
	v_add_nc_u32_e32 v10, 0xfffffc10, v18
	v_add_nc_u32_e32 v12, 0x800, v43
	v_lshrrev_b32_e32 v18, 16, v1
	s_or_b32 vcc_lo, s0, vcc_lo
	v_cndmask_b32_e64 v8, 0, 1, s1
	v_add_co_ci_u32_e32 v13, vcc_lo, 0, v9, vcc_lo
	v_cmp_ne_u32_e32 vcc_lo, 0, v0
	v_lshl_or_b32 v16, v10, 12, v4
	v_or_b32_e32 v11, v11, v8
	ds_read2_b32 v[8:9], v12 offset0:100 offset1:202
	v_cndmask_b32_e64 v0, 0, 1, vcc_lo
	v_cmp_gt_i32_e32 vcc_lo, 1, v10
	v_and_or_b32 v2, 0x1ff, v3, v2
	v_lshl_or_b32 v0, v0, 9, 0x7c00
	v_cndmask_b32_e32 v11, v16, v11, vcc_lo
	v_cmp_gt_i32_e32 vcc_lo, 31, v17
	v_mul_f64 v[6:7], v[6:7], s[6:7]
	v_lshrrev_b32_e32 v16, 8, v3
	v_lshrrev_b32_e32 v1, 2, v11
	v_cndmask_b32_e32 v12, 0x7c00, v13, vcc_lo
	v_cmp_ne_u32_e32 vcc_lo, 0, v2
	v_and_b32_e32 v13, 7, v11
	v_cndmask_b32_e64 v2, 0, 1, vcc_lo
	v_cmp_eq_u32_e32 vcc_lo, 0x40f, v17
	v_cmp_eq_u32_e64 s0, 3, v13
	v_bfe_u32 v17, v3, 20, 11
	v_and_or_b32 v2, 0xffe, v16, v2
	v_cndmask_b32_e32 v12, v12, v0, vcc_lo
	v_cmp_lt_i32_e32 vcc_lo, 5, v13
	s_waitcnt lgkmcnt(0)
	v_lshrrev_b32_e32 v16, 16, v8
	v_sub_nc_u32_e32 v0, 0x3f1, v17
	v_or_b32_e32 v11, 0x1000, v2
	v_add_nc_u32_e32 v17, 0xfffffc10, v17
	s_or_b32 vcc_lo, s0, vcc_lo
	v_mul_f16_sdwa v13, v55, v16 dst_sel:DWORD dst_unused:UNUSED_PAD src0_sel:WORD_1 src1_sel:DWORD
	v_add_co_ci_u32_e32 v1, vcc_lo, 0, v1, vcc_lo
	v_cmp_ne_u32_e32 vcc_lo, 0, v4
	v_med3_i32 v0, v0, 0, 13
	v_fmac_f16_e32 v13, v55, v8
	v_and_or_b32 v6, 0x1ff, v7, v6
	v_bfe_u32 v23, v7, 20, 11
	v_cndmask_b32_e64 v4, 0, 1, vcc_lo
	v_cmp_gt_i32_e32 vcc_lo, 31, v10
	v_lshrrev_b32_e32 v19, v0, v11
	v_cvt_f32_f16_e32 v13, v13
	v_and_or_b32 v12, 0x8000, v18, v12
	v_lshl_or_b32 v4, v4, 9, 0x7c00
	v_cndmask_b32_e32 v21, 0x7c00, v1, vcc_lo
	v_cmp_ne_u32_e32 vcc_lo, 0, v6
	v_lshlrev_b32_e32 v22, v0, v19
	v_cvt_f64_f32_e32 v[0:1], v13
	v_lshrrev_b32_e32 v13, 8, v7
	v_lshl_or_b32 v18, v17, 12, v2
	v_cndmask_b32_e64 v6, 0, 1, vcc_lo
	v_cmp_eq_u32_e32 vcc_lo, 0x40f, v10
	v_sub_nc_u32_e32 v10, 0x3f1, v23
	v_mul_f16_sdwa v8, v55, v8 dst_sel:DWORD dst_unused:UNUSED_PAD src0_sel:WORD_1 src1_sel:DWORD
	v_and_b32_e32 v12, 0xffff, v12
	v_and_or_b32 v6, 0xffe, v13, v6
	v_cndmask_b32_e32 v4, v21, v4, vcc_lo
	v_cmp_ne_u32_e32 vcc_lo, v22, v11
	v_med3_i32 v10, v10, 0, 13
	v_fma_f16 v8, v55, v16, -v8
	v_or_b32_e32 v13, 0x1000, v6
	v_add_nc_u32_e32 v16, 0xfffffc10, v23
	v_cndmask_b32_e64 v11, 0, 1, vcc_lo
	v_cmp_gt_i32_e32 vcc_lo, 1, v17
	v_cvt_f32_f16_e32 v8, v8
	v_lshrrev_b32_e32 v21, v10, v13
	v_cmp_gt_i32_e64 s1, 1, v16
	v_or_b32_e32 v11, v19, v11
	v_and_or_b32 v19, 0x8000, v5, v4
	v_mul_f64 v[0:1], v[0:1], s[6:7]
	v_lshlrev_b32_e32 v10, v10, v21
	v_lshrrev_b32_e32 v7, 16, v7
	v_cndmask_b32_e32 v18, v18, v11, vcc_lo
	v_add_co_u32 v4, vcc_lo, v14, s3
	v_add_co_ci_u32_e32 v5, vcc_lo, s2, v15, vcc_lo
	v_cmp_ne_u32_e32 vcc_lo, v10, v13
	v_lshl_or_b32 v14, v19, 16, v12
	v_and_b32_e32 v15, 7, v18
	global_store_dword v[4:5], v20, off
	v_cndmask_b32_e64 v12, 0, 1, vcc_lo
	v_add_co_u32 v10, vcc_lo, v4, s3
	v_add_co_ci_u32_e32 v11, vcc_lo, s2, v5, vcc_lo
	v_or_b32_e32 v19, v21, v12
	v_cvt_f64_f32_e32 v[12:13], v8
	v_lshl_or_b32 v21, v16, 12, v6
	v_cmp_lt_i32_e32 vcc_lo, 5, v15
	v_cmp_eq_u32_e64 s0, 3, v15
	v_and_or_b32 v0, 0x1ff, v1, v0
	v_lshrrev_b32_e32 v8, 2, v18
	v_cndmask_b32_e64 v15, v21, v19, s1
	v_lshrrev_b32_e32 v18, 8, v1
	s_or_b32 vcc_lo, s0, vcc_lo
	v_cmp_ne_u32_e64 s1, 0, v0
	v_add_co_ci_u32_e32 v8, vcc_lo, 0, v8, vcc_lo
	v_and_b32_e32 v21, 7, v15
	v_cmp_ne_u32_e32 vcc_lo, 0, v2
	v_cndmask_b32_e64 v0, 0, 1, s1
	v_bfe_u32 v19, v1, 20, 11
	v_lshrrev_b32_e32 v15, 2, v15
	v_cmp_eq_u32_e64 s0, 3, v21
	v_cndmask_b32_e64 v2, 0, 1, vcc_lo
	v_cmp_lt_i32_e32 vcc_lo, 5, v21
	v_and_or_b32 v0, 0xffe, v18, v0
	v_sub_nc_u32_e32 v18, 0x3f1, v19
	v_mul_f64 v[12:13], v[12:13], s[6:7]
	v_cmp_gt_i32_e64 s1, 31, v17
	s_or_b32 vcc_lo, s0, vcc_lo
	v_or_b32_e32 v21, 0x1000, v0
	v_add_co_ci_u32_e32 v15, vcc_lo, 0, v15, vcc_lo
	v_med3_i32 v18, v18, 0, 13
	v_cndmask_b32_e64 v8, 0x7c00, v8, s1
	v_lshl_or_b32 v2, v2, 9, 0x7c00
	v_cmp_eq_u32_e32 vcc_lo, 0x40f, v17
	v_lshrrev_b32_e32 v17, 16, v3
	v_lshrrev_b32_e32 v22, v18, v21
	v_add_nc_u32_e32 v19, 0xfffffc10, v19
	global_store_dword v[10:11], v14, off
	v_cndmask_b32_e32 v8, v8, v2, vcc_lo
	v_cmp_gt_i32_e32 vcc_lo, 31, v16
	v_lshlrev_b32_e32 v2, v18, v22
	v_lshrrev_b32_e32 v18, 16, v9
	v_and_or_b32 v8, 0x8000, v17, v8
	v_cndmask_b32_e32 v15, 0x7c00, v15, vcc_lo
	v_cmp_ne_u32_e32 vcc_lo, 0, v6
	v_and_or_b32 v12, 0x1ff, v13, v12
	v_mul_f16_sdwa v6, v53, v18 dst_sel:DWORD dst_unused:UNUSED_PAD src0_sel:WORD_1 src1_sel:DWORD
	v_bfe_u32 v23, v13, 20, 11
	v_and_b32_e32 v8, 0xffff, v8
	v_cndmask_b32_e64 v3, 0, 1, vcc_lo
	v_cmp_ne_u32_e32 vcc_lo, v2, v21
	v_fmac_f16_e32 v6, v53, v9
	v_lshl_or_b32 v21, v3, 9, 0x7c00
	v_cndmask_b32_e64 v2, 0, 1, vcc_lo
	v_cmp_ne_u32_e32 vcc_lo, 0, v12
	v_lshl_or_b32 v3, v19, 12, v0
	v_cvt_f32_f16_e32 v6, v6
	v_or_b32_e32 v2, v22, v2
	v_cndmask_b32_e64 v12, 0, 1, vcc_lo
	v_lshrrev_b32_e32 v22, 8, v13
	v_cmp_gt_i32_e32 vcc_lo, 1, v19
	v_lshrrev_b32_e32 v13, 16, v13
	v_and_or_b32 v12, 0xffe, v22, v12
	v_cndmask_b32_e32 v24, v3, v2, vcc_lo
	v_sub_nc_u32_e32 v22, 0x3f1, v23
	v_cmp_eq_u32_e32 vcc_lo, 0x40f, v16
	v_cvt_f64_f32_e32 v[2:3], v6
	v_or_b32_e32 v16, 0x1000, v12
	v_cndmask_b32_e32 v6, v15, v21, vcc_lo
	v_med3_i32 v21, v22, 0, 13
	v_and_b32_e32 v15, 7, v24
	v_and_or_b32 v17, 0x8000, v7, v6
	v_mul_f16_sdwa v6, v53, v9 dst_sel:DWORD dst_unused:UNUSED_PAD src0_sel:WORD_1 src1_sel:DWORD
	v_lshrrev_b32_e32 v9, v21, v16
	v_cmp_lt_i32_e32 vcc_lo, 5, v15
	v_cmp_eq_u32_e64 s0, 3, v15
	v_lshrrev_b32_e32 v7, 2, v24
	v_fma_f16 v6, v53, v18, -v6
	v_lshlrev_b32_e32 v15, v21, v9
	v_add_nc_u32_e32 v21, 0xc00, v43
	s_or_b32 vcc_lo, s0, vcc_lo
	v_lshl_or_b32 v14, v17, 16, v8
	v_add_co_ci_u32_e32 v18, vcc_lo, 0, v7, vcc_lo
	v_cmp_ne_u32_e32 vcc_lo, v15, v16
	v_cvt_f32_f16_e32 v6, v6
	v_mul_f64 v[2:3], v[2:3], s[6:7]
	v_add_nc_u32_e32 v16, 0xfffffc10, v23
	v_cndmask_b32_e64 v15, 0, 1, vcc_lo
	v_cmp_ne_u32_e32 vcc_lo, 0, v0
	v_cvt_f64_f32_e32 v[6:7], v6
	v_or_b32_e32 v9, v9, v15
	v_cndmask_b32_e64 v0, 0, 1, vcc_lo
	v_cmp_gt_i32_e32 vcc_lo, 31, v19
	v_lshl_or_b32 v15, v16, 12, v12
	v_lshl_or_b32 v0, v0, 9, 0x7c00
	v_cndmask_b32_e32 v18, 0x7c00, v18, vcc_lo
	v_cmp_gt_i32_e32 vcc_lo, 1, v16
	v_cndmask_b32_e32 v9, v15, v9, vcc_lo
	v_cmp_eq_u32_e32 vcc_lo, 0x40f, v19
	v_and_or_b32 v2, 0x1ff, v3, v2
	v_and_b32_e32 v4, 7, v9
	v_cndmask_b32_e32 v15, v18, v0, vcc_lo
	v_lshrrev_b32_e32 v18, 16, v1
	ds_read2_b32 v[0:1], v21 offset0:48 offset1:150
	v_cmp_ne_u32_e64 s1, 0, v2
	v_cmp_lt_i32_e32 vcc_lo, 5, v4
	v_cmp_eq_u32_e64 s0, 3, v4
	v_mul_f64 v[4:5], v[6:7], s[6:7]
	v_lshrrev_b32_e32 v6, 2, v9
	v_cndmask_b32_e64 v2, 0, 1, s1
	v_lshrrev_b32_e32 v7, 8, v3
	v_bfe_u32 v9, v3, 20, 11
	s_or_b32 vcc_lo, s0, vcc_lo
	v_and_or_b32 v8, 0x8000, v18, v15
	v_add_co_ci_u32_e32 v6, vcc_lo, 0, v6, vcc_lo
	v_and_or_b32 v2, 0xffe, v7, v2
	v_sub_nc_u32_e32 v7, 0x3f1, v9
	v_cmp_ne_u32_e32 vcc_lo, 0, v12
	v_lshrrev_b32_e32 v3, 16, v3
	v_or_b32_e32 v17, 0x1000, v2
	v_med3_i32 v7, v7, 0, 13
	s_waitcnt lgkmcnt(0)
	v_lshrrev_b32_e32 v15, 16, v0
	v_cndmask_b32_e64 v12, 0, 1, vcc_lo
	v_cmp_gt_i32_e32 vcc_lo, 31, v16
	v_lshrrev_b32_e32 v19, v7, v17
	v_mul_f16_sdwa v18, v52, v15 dst_sel:DWORD dst_unused:UNUSED_PAD src0_sel:WORD_1 src1_sel:DWORD
	v_lshl_or_b32 v12, v12, 9, 0x7c00
	v_cndmask_b32_e32 v6, 0x7c00, v6, vcc_lo
	v_and_or_b32 v4, 0x1ff, v5, v4
	v_cmp_eq_u32_e32 vcc_lo, 0x40f, v16
	v_fmac_f16_e32 v18, v52, v0
	v_lshlrev_b32_e32 v16, v7, v19
	v_bfe_u32 v20, v5, 20, 11
	v_mul_f16_sdwa v0, v52, v0 dst_sel:DWORD dst_unused:UNUSED_PAD src0_sel:WORD_1 src1_sel:DWORD
	v_cndmask_b32_e32 v12, v6, v12, vcc_lo
	v_cmp_ne_u32_e32 vcc_lo, 0, v4
	v_cvt_f32_f16_e32 v6, v18
	v_lshrrev_b32_e32 v18, 8, v5
	v_fma_f16 v0, v52, v15, -v0
	v_and_or_b32 v12, 0x8000, v13, v12
	v_cndmask_b32_e64 v4, 0, 1, vcc_lo
	v_cmp_ne_u32_e32 vcc_lo, v16, v17
	v_cvt_f64_f32_e32 v[6:7], v6
	v_add_nc_u32_e32 v17, 0xfffffc10, v9
	v_sub_nc_u32_e32 v9, 0x3f1, v20
	v_and_or_b32 v4, 0xffe, v18, v4
	v_cndmask_b32_e64 v16, 0, 1, vcc_lo
	v_and_b32_e32 v13, 0xffff, v8
	v_lshl_or_b32 v18, v17, 12, v2
	v_med3_i32 v21, v9, 0, 13
	v_cmp_gt_i32_e32 vcc_lo, 1, v17
	v_or_b32_e32 v16, v19, v16
	v_or_b32_e32 v19, 0x1000, v4
	v_lshl_or_b32 v22, v12, 16, v13
	v_cvt_f32_f16_e32 v0, v0
	v_add_nc_u32_e32 v15, 0xfffffc10, v20
	v_cndmask_b32_e32 v16, v18, v16, vcc_lo
	v_lshrrev_b32_e32 v18, v21, v19
	v_add_co_u32 v8, vcc_lo, v10, s3
	v_add_co_ci_u32_e32 v9, vcc_lo, s2, v11, vcc_lo
	v_lshlrev_b32_e32 v13, v21, v18
	v_and_b32_e32 v12, 7, v16
	v_mul_f64 v[6:7], v[6:7], s[6:7]
	v_add_co_u32 v10, vcc_lo, v8, s3
	v_cmp_ne_u32_e64 s0, v13, v19
	v_add_co_ci_u32_e32 v11, vcc_lo, s2, v9, vcc_lo
	v_cmp_lt_i32_e32 vcc_lo, 5, v12
	v_lshrrev_b32_e32 v16, 2, v16
	v_cndmask_b32_e64 v13, 0, 1, s0
	v_cmp_eq_u32_e64 s0, 3, v12
	v_lshl_or_b32 v19, v15, 12, v4
	v_lshrrev_b32_e32 v5, 16, v5
	global_store_dword v[8:9], v14, off
	global_store_dword v[10:11], v22, off
	v_or_b32_e32 v18, v18, v13
	s_or_b32 vcc_lo, s0, vcc_lo
	v_cvt_f64_f32_e32 v[12:13], v0
	v_add_co_ci_u32_e32 v0, vcc_lo, 0, v16, vcc_lo
	v_cmp_ne_u32_e32 vcc_lo, 0, v2
	v_and_or_b32 v6, 0x1ff, v7, v6
	v_cndmask_b32_e64 v2, 0, 1, vcc_lo
	v_cmp_gt_i32_e32 vcc_lo, 1, v15
	v_bfe_u32 v20, v7, 20, 11
	v_lshl_or_b32 v2, v2, 9, 0x7c00
	v_cndmask_b32_e32 v16, v19, v18, vcc_lo
	v_cmp_gt_i32_e32 vcc_lo, 31, v17
	v_lshrrev_b32_e32 v19, 8, v7
	v_lshrrev_b32_e32 v7, 16, v7
	v_and_b32_e32 v18, 7, v16
	v_cndmask_b32_e32 v0, 0x7c00, v0, vcc_lo
	v_cmp_ne_u32_e32 vcc_lo, 0, v6
	v_mul_f64 v[12:13], v[12:13], s[6:7]
	v_lshrrev_b32_e32 v16, 2, v16
	v_cmp_eq_u32_e64 s0, 3, v18
	v_cndmask_b32_e64 v6, 0, 1, vcc_lo
	v_cmp_eq_u32_e32 vcc_lo, 0x40f, v17
	v_and_or_b32 v6, 0xffe, v19, v6
	v_cndmask_b32_e32 v0, v0, v2, vcc_lo
	v_cmp_lt_i32_e32 vcc_lo, 5, v18
	v_sub_nc_u32_e32 v2, 0x3f1, v20
	v_lshrrev_b32_e32 v18, 16, v1
	v_or_b32_e32 v17, 0x1000, v6
	v_and_or_b32 v0, 0x8000, v3, v0
	s_or_b32 vcc_lo, s0, vcc_lo
	v_med3_i32 v2, v2, 0, 13
	v_add_co_ci_u32_e32 v16, vcc_lo, 0, v16, vcc_lo
	v_cmp_ne_u32_e32 vcc_lo, 0, v4
	v_mul_f16_sdwa v21, v51, v18 dst_sel:DWORD dst_unused:UNUSED_PAD src0_sel:WORD_1 src1_sel:DWORD
	v_lshrrev_b32_e32 v19, v2, v17
	v_and_or_b32 v3, 0x1ff, v13, v12
	v_and_b32_e32 v0, 0xffff, v0
	v_cndmask_b32_e64 v4, 0, 1, vcc_lo
	v_cmp_gt_i32_e32 vcc_lo, 31, v15
	v_lshlrev_b32_e32 v2, v2, v19
	v_fmac_f16_e32 v21, v51, v1
	v_lshl_or_b32 v4, v4, 9, 0x7c00
	v_cndmask_b32_e32 v16, 0x7c00, v16, vcc_lo
	v_cmp_eq_u32_e32 vcc_lo, 0x40f, v15
	v_add_nc_u32_e32 v15, 0xfffffc10, v20
	v_bfe_u32 v20, v13, 20, 11
	v_cndmask_b32_e32 v4, v16, v4, vcc_lo
	v_cmp_ne_u32_e32 vcc_lo, v2, v17
	v_cvt_f32_f16_e32 v2, v21
	v_lshrrev_b32_e32 v17, 8, v13
	v_and_or_b32 v4, 0x8000, v5, v4
	v_cndmask_b32_e64 v12, 0, 1, vcc_lo
	v_cmp_ne_u32_e32 vcc_lo, 0, v3
	v_cvt_f64_f32_e32 v[2:3], v2
	v_lshl_or_b32 v14, v4, 16, v0
	v_or_b32_e32 v5, v19, v12
	v_cndmask_b32_e64 v16, 0, 1, vcc_lo
	v_lshl_or_b32 v12, v15, 12, v6
	v_cmp_gt_i32_e32 vcc_lo, 1, v15
	v_and_or_b32 v16, 0xffe, v17, v16
	v_sub_nc_u32_e32 v17, 0x3f1, v20
	v_cndmask_b32_e32 v12, v12, v5, vcc_lo
	v_add_co_u32 v4, vcc_lo, v10, s3
	v_or_b32_e32 v19, 0x1000, v16
	v_med3_i32 v17, v17, 0, 13
	v_and_b32_e32 v8, 7, v12
	v_mul_f16_sdwa v10, v51, v1 dst_sel:DWORD dst_unused:UNUSED_PAD src0_sel:WORD_1 src1_sel:DWORD
	v_add_co_ci_u32_e32 v5, vcc_lo, s2, v11, vcc_lo
	v_lshrrev_b32_e32 v9, v17, v19
	v_cmp_lt_i32_e32 vcc_lo, 5, v8
	v_mul_f64 v[0:1], v[2:3], s[6:7]
	v_cmp_eq_u32_e64 s0, 3, v8
	v_fma_f16 v3, v51, v18, -v10
	v_lshlrev_b32_e32 v2, v17, v9
	v_lshrrev_b32_e32 v8, 2, v12
	v_add_nc_u32_e32 v10, 0xfffffc10, v20
	s_or_b32 vcc_lo, s0, vcc_lo
	v_cvt_f32_f16_e32 v3, v3
	v_cmp_ne_u32_e64 s1, v2, v19
	v_add_co_ci_u32_e32 v12, vcc_lo, 0, v8, vcc_lo
	v_cmp_ne_u32_e32 vcc_lo, 0, v6
	v_add_nc_u32_e32 v11, 0xe00, v43
	v_cndmask_b32_e64 v2, 0, 1, s1
	v_lshl_or_b32 v18, v10, 12, v16
	global_store_dword v[4:5], v14, off
	v_cndmask_b32_e64 v6, 0, 1, vcc_lo
	v_cmp_gt_i32_e32 vcc_lo, 1, v10
	v_or_b32_e32 v17, v9, v2
	v_cvt_f64_f32_e32 v[2:3], v3
	ds_read2_b32 v[8:9], v11 offset0:124 offset1:226
	v_lshl_or_b32 v6, v6, 9, 0x7c00
	v_and_or_b32 v0, 0x1ff, v1, v0
	v_cndmask_b32_e32 v11, v18, v17, vcc_lo
	v_cmp_gt_i32_e32 vcc_lo, 31, v15
	v_lshrrev_b32_e32 v18, 8, v1
	v_bfe_u32 v19, v1, 20, 11
	v_lshrrev_b32_e32 v1, 16, v1
	v_and_b32_e32 v17, 7, v11
	v_cndmask_b32_e32 v12, 0x7c00, v12, vcc_lo
	v_cmp_ne_u32_e32 vcc_lo, 0, v0
	v_lshrrev_b32_e32 v11, 2, v11
	v_cmp_eq_u32_e64 s0, 3, v17
	v_cndmask_b32_e64 v0, 0, 1, vcc_lo
	v_cmp_eq_u32_e32 vcc_lo, 0x40f, v15
	v_and_or_b32 v0, 0xffe, v18, v0
	v_cndmask_b32_e32 v6, v12, v6, vcc_lo
	v_cmp_lt_i32_e32 vcc_lo, 5, v17
	v_mul_f64 v[2:3], v[2:3], s[6:7]
	v_sub_nc_u32_e32 v12, 0x3f1, v19
	s_waitcnt lgkmcnt(0)
	v_lshrrev_b32_e32 v15, 16, v8
	v_or_b32_e32 v17, 0x1000, v0
	s_or_b32 vcc_lo, s0, vcc_lo
	v_and_or_b32 v21, 0x8000, v7, v6
	v_add_co_ci_u32_e32 v11, vcc_lo, 0, v11, vcc_lo
	v_med3_i32 v12, v12, 0, 13
	v_cmp_ne_u32_e32 vcc_lo, 0, v16
	v_mul_f16_sdwa v18, v50, v15 dst_sel:DWORD dst_unused:UNUSED_PAD src0_sel:WORD_1 src1_sel:DWORD
	v_lshrrev_b32_e32 v20, v12, v17
	v_cndmask_b32_e64 v16, 0, 1, vcc_lo
	v_cmp_gt_i32_e32 vcc_lo, 31, v10
	v_fmac_f16_e32 v18, v50, v8
	v_mul_f16_sdwa v8, v50, v8 dst_sel:DWORD dst_unused:UNUSED_PAD src0_sel:WORD_1 src1_sel:DWORD
	v_lshlrev_b32_e32 v12, v12, v20
	v_lshl_or_b32 v16, v16, 9, 0x7c00
	v_cndmask_b32_e32 v11, 0x7c00, v11, vcc_lo
	v_cmp_eq_u32_e32 vcc_lo, 0x40f, v10
	v_cvt_f32_f16_e32 v6, v18
	v_and_or_b32 v2, 0x1ff, v3, v2
	v_and_b32_e32 v18, 0xffff, v21
	v_fma_f16 v8, v50, v15, -v8
	v_cndmask_b32_e32 v10, v11, v16, vcc_lo
	v_cmp_ne_u32_e32 vcc_lo, v12, v17
	v_cvt_f64_f32_e32 v[6:7], v6
	v_lshrrev_b32_e32 v11, 16, v13
	v_add_nc_u32_e32 v13, 0xfffffc10, v19
	v_lshrrev_b32_e32 v16, 8, v3
	v_cndmask_b32_e64 v12, 0, 1, vcc_lo
	v_cmp_ne_u32_e32 vcc_lo, 0, v2
	v_bfe_u32 v17, v3, 20, 11
	v_and_or_b32 v10, 0x8000, v11, v10
	v_cvt_f32_f16_e32 v8, v8
	v_or_b32_e32 v11, v20, v12
	v_cndmask_b32_e64 v2, 0, 1, vcc_lo
	v_lshl_or_b32 v12, v13, 12, v0
	v_cmp_gt_i32_e32 vcc_lo, 1, v13
	v_lshl_or_b32 v14, v10, 16, v18
	v_lshrrev_b32_e32 v3, 16, v3
	v_and_or_b32 v2, 0xffe, v16, v2
	v_sub_nc_u32_e32 v16, 0x3f1, v17
	v_cndmask_b32_e32 v11, v12, v11, vcc_lo
	v_add_co_u32 v4, vcc_lo, v4, s3
	v_or_b32_e32 v12, 0x1000, v2
	v_med3_i32 v16, v16, 0, 13
	v_and_b32_e32 v10, 7, v11
	v_mul_f64 v[6:7], v[6:7], s[6:7]
	v_add_co_ci_u32_e32 v5, vcc_lo, s2, v5, vcc_lo
	v_lshrrev_b32_e32 v18, v16, v12
	v_cmp_lt_i32_e32 vcc_lo, 5, v10
	v_cmp_eq_u32_e64 s0, 3, v10
	global_store_dword v[4:5], v14, off
	v_lshlrev_b32_e32 v15, v16, v18
	v_lshrrev_b32_e32 v16, 2, v11
	s_or_b32 vcc_lo, s0, vcc_lo
	v_cvt_f64_f32_e32 v[10:11], v8
	v_cmp_ne_u32_e64 s1, v15, v12
	v_add_co_ci_u32_e32 v8, vcc_lo, 0, v16, vcc_lo
	v_cmp_ne_u32_e32 vcc_lo, 0, v0
	v_add_nc_u32_e32 v15, 0xfffffc10, v17
	v_cndmask_b32_e64 v12, 0, 1, s1
	v_cndmask_b32_e64 v0, 0, 1, vcc_lo
	v_cmp_gt_i32_e32 vcc_lo, 31, v13
	v_or_b32_e32 v12, v18, v12
	v_lshl_or_b32 v16, v15, 12, v2
	v_and_or_b32 v6, 0x1ff, v7, v6
	v_lshl_or_b32 v0, v0, 9, 0x7c00
	v_cndmask_b32_e32 v8, 0x7c00, v8, vcc_lo
	v_cmp_gt_i32_e32 vcc_lo, 1, v15
	v_bfe_u32 v17, v7, 20, 11
	v_lshrrev_b32_e32 v18, 16, v9
	v_cndmask_b32_e32 v12, v16, v12, vcc_lo
	v_cmp_ne_u32_e32 vcc_lo, 0, v6
	v_lshrrev_b32_e32 v16, 8, v7
	v_mul_f64 v[10:11], v[10:11], s[6:7]
	v_lshrrev_b32_e32 v7, 16, v7
	v_cndmask_b32_e64 v6, 0, 1, vcc_lo
	v_cmp_eq_u32_e32 vcc_lo, 0x40f, v13
	v_sub_nc_u32_e32 v13, 0x3f1, v17
	v_add_nc_u32_e32 v17, 0xfffffc10, v17
	v_and_or_b32 v6, 0xffe, v16, v6
	v_cndmask_b32_e32 v0, v8, v0, vcc_lo
	v_and_b32_e32 v8, 7, v12
	v_med3_i32 v13, v13, 0, 13
	v_or_b32_e32 v16, 0x1000, v6
	v_cmp_lt_i32_e32 vcc_lo, 5, v8
	v_cmp_eq_u32_e64 s0, 3, v8
	v_and_or_b32 v8, 0x8000, v1, v0
	v_lshrrev_b32_e32 v0, 2, v12
	v_lshrrev_b32_e32 v12, v13, v16
	v_mul_f16_sdwa v1, v49, v18 dst_sel:DWORD dst_unused:UNUSED_PAD src0_sel:WORD_1 src1_sel:DWORD
	s_or_b32 vcc_lo, s0, vcc_lo
	v_and_or_b32 v10, 0x1ff, v11, v10
	v_add_co_ci_u32_e32 v0, vcc_lo, 0, v0, vcc_lo
	v_cmp_ne_u32_e32 vcc_lo, 0, v2
	v_lshlrev_b32_e32 v13, v13, v12
	v_fmac_f16_e32 v1, v49, v9
	v_bfe_u32 v20, v11, 20, 11
	v_mul_f16_sdwa v9, v49, v9 dst_sel:DWORD dst_unused:UNUSED_PAD src0_sel:WORD_1 src1_sel:DWORD
	v_cndmask_b32_e64 v2, 0, 1, vcc_lo
	v_cmp_gt_i32_e32 vcc_lo, 31, v15
	v_lshl_or_b32 v2, v2, 9, 0x7c00
	v_cndmask_b32_e32 v19, 0x7c00, v0, vcc_lo
	v_cmp_ne_u32_e32 vcc_lo, v13, v16
	v_cvt_f32_f16_e32 v0, v1
	v_lshrrev_b32_e32 v16, 8, v11
	v_lshrrev_b32_e32 v11, 16, v11
	v_cndmask_b32_e64 v13, 0, 1, vcc_lo
	v_cmp_ne_u32_e32 vcc_lo, 0, v10
	v_cvt_f64_f32_e32 v[0:1], v0
	v_or_b32_e32 v12, v12, v13
	v_cndmask_b32_e64 v10, 0, 1, vcc_lo
	v_cmp_eq_u32_e32 vcc_lo, 0x40f, v15
	v_sub_nc_u32_e32 v15, 0x3f1, v20
	v_lshl_or_b32 v13, v17, 12, v6
	v_and_or_b32 v10, 0xffe, v16, v10
	v_cndmask_b32_e32 v2, v19, v2, vcc_lo
	v_cmp_gt_i32_e32 vcc_lo, 1, v17
	v_med3_i32 v15, v15, 0, 13
	v_or_b32_e32 v16, 0x1000, v10
	v_and_or_b32 v2, 0x8000, v3, v2
	v_cndmask_b32_e32 v12, v13, v12, vcc_lo
	v_and_b32_e32 v3, 0xffff, v8
	v_lshrrev_b32_e32 v8, v15, v16
	v_and_b32_e32 v13, 7, v12
	v_mul_f64 v[0:1], v[0:1], s[6:7]
	v_lshl_or_b32 v14, v2, 16, v3
	v_lshlrev_b32_e32 v2, v15, v8
	v_fma_f16 v3, v49, v18, -v9
	v_cmp_lt_i32_e32 vcc_lo, 5, v13
	v_cmp_eq_u32_e64 s0, 3, v13
	v_lshrrev_b32_e32 v9, 2, v12
	v_cmp_ne_u32_e64 s1, v2, v16
	v_cvt_f32_f16_e32 v3, v3
	v_add_nc_u32_e32 v12, 0xfffffc10, v20
	s_or_b32 vcc_lo, s0, vcc_lo
	v_add_nc_u32_e32 v15, 0x1200, v43
	v_cndmask_b32_e64 v2, 0, 1, s1
	v_add_co_ci_u32_e32 v13, vcc_lo, 0, v9, vcc_lo
	v_cmp_ne_u32_e32 vcc_lo, 0, v6
	v_lshl_or_b32 v9, v12, 12, v10
	v_or_b32_e32 v8, v8, v2
	v_cvt_f64_f32_e32 v[2:3], v3
	v_cndmask_b32_e64 v6, 0, 1, vcc_lo
	v_cmp_gt_i32_e32 vcc_lo, 1, v12
	v_and_or_b32 v0, 0x1ff, v1, v0
	v_lshrrev_b32_e32 v18, 8, v1
	v_bfe_u32 v19, v1, 20, 11
	v_lshl_or_b32 v6, v6, 9, 0x7c00
	v_cndmask_b32_e32 v16, v9, v8, vcc_lo
	v_cmp_gt_i32_e32 vcc_lo, 31, v17
	ds_read2_b32 v[8:9], v15 offset0:72 offset1:174
	v_and_b32_e32 v15, 7, v16
	v_cndmask_b32_e32 v13, 0x7c00, v13, vcc_lo
	v_cmp_ne_u32_e32 vcc_lo, 0, v0
	v_cmp_eq_u32_e64 s0, 3, v15
	v_cndmask_b32_e64 v0, 0, 1, vcc_lo
	v_cmp_eq_u32_e32 vcc_lo, 0x40f, v17
	v_mul_f64 v[2:3], v[2:3], s[6:7]
	v_and_or_b32 v0, 0xffe, v18, v0
	v_cndmask_b32_e32 v6, v13, v6, vcc_lo
	v_cmp_lt_i32_e32 vcc_lo, 5, v15
	v_lshrrev_b32_e32 v15, 2, v16
	v_sub_nc_u32_e32 v13, 0x3f1, v19
	v_or_b32_e32 v16, 0x1000, v0
	s_waitcnt lgkmcnt(0)
	v_lshrrev_b32_e32 v17, 16, v8
	s_or_b32 vcc_lo, s0, vcc_lo
	v_and_or_b32 v21, 0x8000, v7, v6
	v_add_co_ci_u32_e32 v15, vcc_lo, 0, v15, vcc_lo
	v_med3_i32 v13, v13, 0, 13
	v_cmp_ne_u32_e32 vcc_lo, 0, v10
	v_mul_f16_sdwa v20, v48, v17 dst_sel:DWORD dst_unused:UNUSED_PAD src0_sel:WORD_1 src1_sel:DWORD
	v_lshrrev_b32_e32 v18, v13, v16
	v_cndmask_b32_e64 v10, 0, 1, vcc_lo
	v_cmp_gt_i32_e32 vcc_lo, 31, v12
	v_fmac_f16_e32 v20, v48, v8
	v_and_or_b32 v2, 0x1ff, v3, v2
	v_lshlrev_b32_e32 v6, v13, v18
	v_lshl_or_b32 v10, v10, 9, 0x7c00
	v_cndmask_b32_e32 v15, 0x7c00, v15, vcc_lo
	v_cmp_eq_u32_e32 vcc_lo, 0x40f, v12
	v_cvt_f32_f16_e32 v7, v20
	v_lshrrev_b32_e32 v13, 8, v3
	v_mul_f16_sdwa v8, v48, v8 dst_sel:DWORD dst_unused:UNUSED_PAD src0_sel:WORD_1 src1_sel:DWORD
	v_cndmask_b32_e32 v10, v15, v10, vcc_lo
	v_cmp_ne_u32_e32 vcc_lo, v6, v16
	v_cvt_f64_f32_e32 v[6:7], v7
	v_bfe_u32 v16, v3, 20, 11
	v_add_nc_u32_e32 v15, 0xfffffc10, v19
	v_and_or_b32 v10, 0x8000, v11, v10
	v_cndmask_b32_e64 v12, 0, 1, vcc_lo
	v_cmp_ne_u32_e32 vcc_lo, 0, v2
	v_fma_f16 v8, v48, v17, -v8
	v_or_b32_e32 v11, v18, v12
	v_cndmask_b32_e64 v2, 0, 1, vcc_lo
	v_lshl_or_b32 v12, v15, 12, v0
	v_cmp_gt_i32_e32 vcc_lo, 1, v15
	v_and_b32_e32 v18, 0xffff, v21
	v_cvt_f32_f16_e32 v8, v8
	v_and_or_b32 v2, 0xffe, v13, v2
	v_sub_nc_u32_e32 v13, 0x3f1, v16
	v_cndmask_b32_e32 v12, v12, v11, vcc_lo
	v_add_co_u32 v4, vcc_lo, v4, s3
	v_or_b32_e32 v19, 0x1000, v2
	v_med3_i32 v13, v13, 0, 13
	v_add_co_ci_u32_e32 v5, vcc_lo, s2, v5, vcc_lo
	v_and_b32_e32 v20, 7, v12
	v_mul_f64 v[6:7], v[6:7], s[6:7]
	v_lshrrev_b32_e32 v21, v13, v19
	v_lshl_or_b32 v18, v10, 16, v18
	v_add_co_u32 v10, vcc_lo, v4, s3
	v_add_co_ci_u32_e32 v11, vcc_lo, s2, v5, vcc_lo
	v_lshlrev_b32_e32 v13, v13, v21
	v_cmp_lt_i32_e32 vcc_lo, 5, v20
	v_cmp_eq_u32_e64 s0, 3, v20
	v_lshrrev_b32_e32 v12, 2, v12
	v_add_nc_u32_e32 v16, 0xfffffc10, v16
	v_cmp_ne_u32_e64 s1, v13, v19
	s_or_b32 vcc_lo, s0, vcc_lo
	v_add_co_ci_u32_e32 v17, vcc_lo, 0, v12, vcc_lo
	v_cndmask_b32_e64 v13, 0, 1, s1
	v_cmp_ne_u32_e32 vcc_lo, 0, v0
	v_lshl_or_b32 v20, v16, 12, v2
	v_and_or_b32 v6, 0x1ff, v7, v6
	v_or_b32_e32 v19, v21, v13
	v_cndmask_b32_e64 v0, 0, 1, vcc_lo
	v_cmp_gt_i32_e32 vcc_lo, 1, v16
	v_cvt_f64_f32_e32 v[12:13], v8
	v_bfe_u32 v21, v7, 20, 11
	v_lshl_or_b32 v0, v0, 9, 0x7c00
	v_cndmask_b32_e32 v8, v20, v19, vcc_lo
	v_cmp_gt_i32_e32 vcc_lo, 31, v15
	v_lshrrev_b32_e32 v20, 8, v7
	v_and_b32_e32 v19, 7, v8
	v_cndmask_b32_e32 v17, 0x7c00, v17, vcc_lo
	v_cmp_ne_u32_e32 vcc_lo, 0, v6
	v_lshrrev_b32_e32 v8, 2, v8
	v_cmp_eq_u32_e64 s0, 3, v19
	v_cndmask_b32_e64 v6, 0, 1, vcc_lo
	v_cmp_eq_u32_e32 vcc_lo, 0x40f, v15
	v_and_or_b32 v6, 0xffe, v20, v6
	v_cndmask_b32_e32 v15, v17, v0, vcc_lo
	v_cmp_lt_i32_e32 vcc_lo, 5, v19
	v_sub_nc_u32_e32 v0, 0x3f1, v21
	v_lshrrev_b32_e32 v19, 16, v9
	v_lshrrev_b32_e32 v17, 16, v1
	v_or_b32_e32 v20, 0x1000, v6
	s_or_b32 vcc_lo, s0, vcc_lo
	v_med3_i32 v22, v0, 0, 13
	v_mul_f64 v[0:1], v[12:13], s[6:7]
	v_add_co_ci_u32_e32 v8, vcc_lo, 0, v8, vcc_lo
	v_mul_f16_sdwa v12, v47, v19 dst_sel:DWORD dst_unused:UNUSED_PAD src0_sel:WORD_1 src1_sel:DWORD
	v_cmp_ne_u32_e32 vcc_lo, 0, v2
	v_lshrrev_b32_e32 v13, v22, v20
	v_and_or_b32 v15, 0x8000, v17, v15
	v_fmac_f16_e32 v12, v47, v9
	v_cndmask_b32_e64 v2, 0, 1, vcc_lo
	v_cmp_gt_i32_e32 vcc_lo, 31, v16
	v_lshlrev_b32_e32 v17, v22, v13
	v_and_b32_e32 v15, 0xffff, v15
	v_cvt_f32_f16_e32 v12, v12
	v_lshl_or_b32 v2, v2, 9, 0x7c00
	v_cndmask_b32_e32 v8, 0x7c00, v8, vcc_lo
	v_cmp_eq_u32_e32 vcc_lo, 0x40f, v16
	v_lshrrev_b32_e32 v16, 16, v3
	v_cndmask_b32_e32 v8, v8, v2, vcc_lo
	v_cvt_f64_f32_e32 v[2:3], v12
	v_cmp_ne_u32_e32 vcc_lo, v17, v20
	v_and_or_b32 v0, 0x1ff, v1, v0
	v_add_nc_u32_e32 v17, 0xfffffc10, v21
	v_and_or_b32 v8, 0x8000, v16, v8
	v_lshrrev_b32_e32 v16, 8, v1
	v_cndmask_b32_e64 v12, 0, 1, vcc_lo
	v_cmp_ne_u32_e32 vcc_lo, 0, v0
	v_bfe_u32 v20, v1, 20, 11
	v_lshl_or_b32 v8, v8, 16, v15
	v_or_b32_e32 v12, v13, v12
	v_cndmask_b32_e64 v0, 0, 1, vcc_lo
	v_lshl_or_b32 v13, v17, 12, v6
	v_cmp_gt_i32_e32 vcc_lo, 1, v17
	v_and_or_b32 v0, 0xffe, v16, v0
	v_sub_nc_u32_e32 v16, 0x3f1, v20
	v_cndmask_b32_e32 v15, v13, v12, vcc_lo
	v_add_co_u32 v12, vcc_lo, v10, s3
	v_mul_f64 v[2:3], v[2:3], s[6:7]
	v_or_b32_e32 v21, 0x1000, v0
	v_med3_i32 v16, v16, 0, 13
	v_add_co_ci_u32_e32 v13, vcc_lo, s2, v11, vcc_lo
	v_and_b32_e32 v22, 7, v15
	global_store_dword v[4:5], v14, off
	global_store_dword v[10:11], v18, off
	;; [unrolled: 1-line block ×3, first 2 shown]
	v_lshrrev_b32_e32 v10, v16, v21
	v_lshrrev_b32_e32 v5, 2, v15
	v_mul_f16_sdwa v4, v47, v9 dst_sel:DWORD dst_unused:UNUSED_PAD src0_sel:WORD_1 src1_sel:DWORD
	v_cmp_lt_i32_e32 vcc_lo, 5, v22
	v_cmp_eq_u32_e64 s0, 3, v22
	v_lshlrev_b32_e32 v8, v16, v10
	v_add_nc_u32_e32 v9, 0x1400, v43
	v_fma_f16 v11, v47, v19, -v4
	s_or_b32 vcc_lo, s0, vcc_lo
	v_add_co_ci_u32_e32 v14, vcc_lo, 0, v5, vcc_lo
	v_cmp_ne_u32_e32 vcc_lo, v8, v21
	ds_read2_b32 v[4:5], v9 offset0:148 offset1:250
	v_and_or_b32 v2, 0x1ff, v3, v2
	v_cvt_f32_f16_e32 v8, v11
	v_add_nc_u32_e32 v11, 0xfffffc10, v20
	v_cndmask_b32_e64 v15, 0, 1, vcc_lo
	v_cmp_gt_i32_e32 vcc_lo, 31, v17
	v_lshrrev_b32_e32 v16, 8, v3
	v_cvt_f64_f32_e32 v[8:9], v8
	v_bfe_u32 v18, v3, 20, 11
	v_or_b32_e32 v10, v10, v15
	v_cndmask_b32_e32 v14, 0x7c00, v14, vcc_lo
	v_cmp_ne_u32_e32 vcc_lo, 0, v2
	v_lshl_or_b32 v15, v11, 12, v0
	v_cndmask_b32_e64 v2, 0, 1, vcc_lo
	v_cmp_ne_u32_e32 vcc_lo, 0, v6
	v_and_or_b32 v2, 0xffe, v16, v2
	v_cndmask_b32_e64 v6, 0, 1, vcc_lo
	v_cmp_gt_i32_e32 vcc_lo, 1, v11
	s_waitcnt lgkmcnt(0)
	v_lshrrev_b32_e32 v16, 16, v4
	v_or_b32_e32 v20, 0x1000, v2
	v_lshl_or_b32 v6, v6, 9, 0x7c00
	v_cndmask_b32_e32 v10, v15, v10, vcc_lo
	v_sub_nc_u32_e32 v15, 0x3f1, v18
	v_cmp_eq_u32_e32 vcc_lo, 0x40f, v17
	v_mul_f16_sdwa v21, v46, v16 dst_sel:DWORD dst_unused:UNUSED_PAD src0_sel:WORD_1 src1_sel:DWORD
	v_mul_f64 v[8:9], v[8:9], s[6:7]
	v_and_b32_e32 v19, 7, v10
	v_med3_i32 v15, v15, 0, 13
	v_cndmask_b32_e32 v14, v14, v6, vcc_lo
	v_lshrrev_b32_e32 v6, 2, v10
	v_fmac_f16_e32 v21, v46, v4
	v_cmp_lt_i32_e32 vcc_lo, 5, v19
	v_cmp_eq_u32_e64 s0, 3, v19
	v_lshrrev_b32_e32 v17, v15, v20
	v_lshrrev_b32_e32 v19, 16, v7
	v_cvt_f32_f16_e32 v7, v21
	v_add_nc_u32_e32 v18, 0xfffffc10, v18
	s_or_b32 vcc_lo, s0, vcc_lo
	v_lshlrev_b32_e32 v10, v15, v17
	v_add_co_ci_u32_e32 v15, vcc_lo, 0, v6, vcc_lo
	v_cmp_ne_u32_e32 vcc_lo, 0, v0
	v_cvt_f64_f32_e32 v[6:7], v7
	v_mul_f16_sdwa v4, v46, v4 dst_sel:DWORD dst_unused:UNUSED_PAD src0_sel:WORD_1 src1_sel:DWORD
	v_cndmask_b32_e64 v0, 0, 1, vcc_lo
	v_cmp_ne_u32_e32 vcc_lo, v10, v20
	v_and_or_b32 v8, 0x1ff, v9, v8
	v_lshrrev_b32_e32 v20, 16, v1
	v_fma_f16 v4, v46, v16, -v4
	v_lshl_or_b32 v0, v0, 9, 0x7c00
	v_cndmask_b32_e64 v10, 0, 1, vcc_lo
	v_cmp_gt_i32_e32 vcc_lo, 31, v11
	v_cvt_f32_f16_e32 v4, v4
	v_or_b32_e32 v10, v17, v10
	v_cndmask_b32_e32 v15, 0x7c00, v15, vcc_lo
	v_cmp_eq_u32_e32 vcc_lo, 0x40f, v11
	v_lshl_or_b32 v17, v18, 12, v2
	v_cndmask_b32_e32 v11, v15, v0, vcc_lo
	v_cmp_gt_i32_e32 vcc_lo, 1, v18
	v_lshrrev_b32_e32 v15, 8, v9
	v_mul_f64 v[0:1], v[6:7], s[6:7]
	v_and_or_b32 v7, 0x8000, v19, v14
	v_and_or_b32 v11, 0x8000, v20, v11
	v_cndmask_b32_e32 v10, v17, v10, vcc_lo
	v_cmp_ne_u32_e32 vcc_lo, 0, v8
	v_bfe_u32 v17, v9, 20, 11
	v_and_b32_e32 v7, 0xffff, v7
	v_and_b32_e32 v21, 7, v10
	v_cndmask_b32_e64 v8, 0, 1, vcc_lo
	v_sub_nc_u32_e32 v6, 0x3f1, v17
	v_lshrrev_b32_e32 v10, 2, v10
	v_lshl_or_b32 v16, v11, 16, v7
	v_cmp_lt_i32_e32 vcc_lo, 5, v21
	v_and_or_b32 v8, 0xffe, v15, v8
	v_med3_i32 v6, v6, 0, 13
	v_cmp_eq_u32_e64 s0, 3, v21
	v_lshrrev_b32_e32 v21, 16, v5
	v_or_b32_e32 v14, 0x1000, v8
	s_or_b32 vcc_lo, s0, vcc_lo
	v_and_or_b32 v0, 0x1ff, v1, v0
	v_add_co_ci_u32_e32 v10, vcc_lo, 0, v10, vcc_lo
	v_lshrrev_b32_e32 v15, v6, v14
	v_cmp_gt_i32_e32 vcc_lo, 31, v18
	v_lshlrev_b32_e32 v6, v6, v15
	v_cndmask_b32_e32 v10, 0x7c00, v10, vcc_lo
	v_cmp_ne_u32_e32 vcc_lo, v6, v14
	v_cvt_f64_f32_e32 v[6:7], v4
	v_add_nc_u32_e32 v4, 0xfffffc10, v17
	v_lshrrev_b32_e32 v14, 8, v1
	v_bfe_u32 v17, v1, 20, 11
	v_cndmask_b32_e64 v11, 0, 1, vcc_lo
	v_cmp_ne_u32_e32 vcc_lo, 0, v0
	v_or_b32_e32 v11, v15, v11
	v_cndmask_b32_e64 v0, 0, 1, vcc_lo
	v_cmp_ne_u32_e32 vcc_lo, 0, v2
	v_lshl_or_b32 v15, v4, 12, v8
	v_and_or_b32 v0, 0xffe, v14, v0
	v_cndmask_b32_e64 v2, 0, 1, vcc_lo
	v_cmp_gt_i32_e32 vcc_lo, 1, v4
	v_sub_nc_u32_e32 v14, 0x3f1, v17
	v_lshl_or_b32 v2, v2, 9, 0x7c00
	v_cndmask_b32_e32 v11, v15, v11, vcc_lo
	v_cmp_eq_u32_e32 vcc_lo, 0x40f, v18
	v_or_b32_e32 v15, 0x1000, v0
	v_med3_i32 v14, v14, 0, 13
	v_lshrrev_b32_e32 v18, 16, v3
	v_and_b32_e32 v19, 7, v11
	v_cndmask_b32_e32 v10, v10, v2, vcc_lo
	v_mul_f64 v[2:3], v[6:7], s[6:7]
	v_lshrrev_b32_e32 v20, v14, v15
	v_add_co_u32 v6, vcc_lo, v12, s3
	v_add_co_ci_u32_e32 v7, vcc_lo, s2, v13, vcc_lo
	v_mul_f16_sdwa v12, v45, v21 dst_sel:DWORD dst_unused:UNUSED_PAD src0_sel:WORD_1 src1_sel:DWORD
	v_and_or_b32 v13, 0x8000, v18, v10
	v_lshlrev_b32_e32 v10, v14, v20
	v_cmp_lt_i32_e32 vcc_lo, 5, v19
	v_cmp_eq_u32_e64 s0, 3, v19
	v_lshrrev_b32_e32 v11, 2, v11
	v_fmac_f16_e32 v12, v45, v5
	v_cmp_ne_u32_e64 s1, v10, v15
	v_add_nc_u32_e32 v14, 0xfffffc10, v17
	s_or_b32 vcc_lo, s0, vcc_lo
	v_mul_f16_sdwa v5, v45, v5 dst_sel:DWORD dst_unused:UNUSED_PAD src0_sel:WORD_1 src1_sel:DWORD
	v_add_co_ci_u32_e32 v15, vcc_lo, 0, v11, vcc_lo
	v_cndmask_b32_e64 v10, 0, 1, s1
	v_cvt_f32_f16_e32 v12, v12
	v_cmp_ne_u32_e32 vcc_lo, 0, v8
	v_and_or_b32 v2, 0x1ff, v3, v2
	v_bfe_u32 v18, v3, 20, 11
	v_or_b32_e32 v17, v20, v10
	v_cvt_f64_f32_e32 v[10:11], v12
	v_lshl_or_b32 v12, v14, 12, v0
	v_cndmask_b32_e64 v8, 0, 1, vcc_lo
	v_cmp_gt_i32_e32 vcc_lo, 1, v14
	v_fma_f16 v5, v45, v21, -v5
	v_lshl_or_b32 v8, v8, 9, 0x7c00
	v_cndmask_b32_e32 v12, v12, v17, vcc_lo
	v_cmp_ne_u32_e32 vcc_lo, 0, v2
	v_lshrrev_b32_e32 v17, 8, v3
	v_and_b32_e32 v19, 7, v12
	v_cndmask_b32_e64 v2, 0, 1, vcc_lo
	v_cmp_gt_i32_e32 vcc_lo, 31, v4
	v_cmp_eq_u32_e64 s0, 3, v19
	v_and_or_b32 v2, 0xffe, v17, v2
	v_cndmask_b32_e32 v15, 0x7c00, v15, vcc_lo
	v_cmp_eq_u32_e32 vcc_lo, 0x40f, v4
	v_lshrrev_b32_e32 v17, 16, v9
	v_or_b32_e32 v20, 0x1000, v2
	v_cndmask_b32_e32 v4, v15, v8, vcc_lo
	v_sub_nc_u32_e32 v15, 0x3f1, v18
	v_cmp_lt_i32_e32 vcc_lo, 5, v19
	v_mul_f64 v[8:9], v[10:11], s[6:7]
	v_lshrrev_b32_e32 v11, 2, v12
	v_and_or_b32 v4, 0x8000, v17, v4
	v_med3_i32 v10, v15, 0, 13
	s_or_b32 vcc_lo, s0, vcc_lo
	v_and_b32_e32 v12, 0xffff, v13
	v_add_co_ci_u32_e32 v11, vcc_lo, 0, v11, vcc_lo
	v_lshrrev_b32_e32 v13, v10, v20
	v_cmp_ne_u32_e32 vcc_lo, 0, v0
	v_lshl_or_b32 v12, v4, 16, v12
	ds_read_b32 v15, v43 offset:6528
	v_add_nc_u32_e32 v17, 0xfffffc10, v18
	v_lshlrev_b32_e32 v4, v10, v13
	v_cndmask_b32_e64 v0, 0, 1, vcc_lo
	v_cmp_gt_i32_e32 vcc_lo, 31, v14
	v_lshrrev_b32_e32 v18, 16, v1
	v_lshl_or_b32 v0, v0, 9, 0x7c00
	v_cndmask_b32_e32 v10, 0x7c00, v11, vcc_lo
	v_cmp_ne_u32_e32 vcc_lo, v4, v20
	v_and_or_b32 v8, 0x1ff, v9, v8
	v_lshl_or_b32 v11, v17, 12, v2
	v_cndmask_b32_e64 v4, 0, 1, vcc_lo
	v_cmp_eq_u32_e32 vcc_lo, 0x40f, v14
	v_bfe_u32 v14, v9, 20, 11
	v_cndmask_b32_e32 v10, v10, v0, vcc_lo
	v_cmp_ne_u32_e32 vcc_lo, 0, v8
	v_or_b32_e32 v0, v13, v4
	v_cvt_f32_f16_e32 v4, v5
	v_lshrrev_b32_e32 v13, 8, v9
	v_and_or_b32 v18, 0x8000, v18, v10
	v_cndmask_b32_e64 v8, 0, 1, vcc_lo
	v_cmp_gt_i32_e32 vcc_lo, 1, v17
	v_cvt_f64_f32_e32 v[4:5], v4
	v_lshrrev_b32_e32 v9, 16, v9
	v_and_or_b32 v8, 0xffe, v13, v8
	v_cndmask_b32_e32 v11, v11, v0, vcc_lo
	v_sub_nc_u32_e32 v0, 0x3f1, v14
	s_waitcnt lgkmcnt(0)
	v_lshrrev_b32_e32 v13, 16, v15
	v_add_nc_u32_e32 v14, 0xfffffc10, v14
	v_or_b32_e32 v20, 0x1000, v8
	v_and_b32_e32 v19, 7, v11
	v_med3_i32 v21, v0, 0, 13
	v_mul_f16_sdwa v22, v44, v13 dst_sel:DWORD dst_unused:UNUSED_PAD src0_sel:WORD_1 src1_sel:DWORD
	v_add_co_u32 v0, vcc_lo, v6, s3
	v_add_co_ci_u32_e32 v1, vcc_lo, s2, v7, vcc_lo
	v_lshrrev_b32_e32 v23, v21, v20
	v_fmac_f16_e32 v22, v44, v15
	v_cmp_lt_i32_e32 vcc_lo, 5, v19
	v_cmp_eq_u32_e64 s0, 3, v19
	v_lshrrev_b32_e32 v10, 2, v11
	v_lshlrev_b32_e32 v19, v21, v23
	v_cvt_f32_f16_e32 v11, v22
	v_mul_f64 v[4:5], v[4:5], s[6:7]
	s_or_b32 vcc_lo, s0, vcc_lo
	v_mul_f16_sdwa v15, v44, v15 dst_sel:DWORD dst_unused:UNUSED_PAD src0_sel:WORD_1 src1_sel:DWORD
	v_add_co_ci_u32_e32 v21, vcc_lo, 0, v10, vcc_lo
	v_cmp_ne_u32_e32 vcc_lo, v19, v20
	v_cvt_f64_f32_e32 v[10:11], v11
	v_lshl_or_b32 v20, v14, 12, v8
	v_fma_f16 v13, v44, v13, -v15
	v_cndmask_b32_e64 v19, 0, 1, vcc_lo
	v_cmp_ne_u32_e32 vcc_lo, 0, v2
	v_cvt_f32_f16_e32 v13, v13
	v_or_b32_e32 v19, v23, v19
	v_cndmask_b32_e64 v2, 0, 1, vcc_lo
	v_cmp_gt_i32_e32 vcc_lo, 31, v17
	v_lshl_or_b32 v2, v2, 9, 0x7c00
	v_cndmask_b32_e32 v15, 0x7c00, v21, vcc_lo
	v_cmp_gt_i32_e32 vcc_lo, 1, v14
	v_and_or_b32 v4, 0x1ff, v5, v4
	v_bfe_u32 v21, v5, 20, 11
	v_cndmask_b32_e32 v19, v20, v19, vcc_lo
	v_cmp_eq_u32_e32 vcc_lo, 0x40f, v17
	v_mul_f64 v[10:11], v[10:11], s[6:7]
	v_lshrrev_b32_e32 v17, 16, v3
	v_lshrrev_b32_e32 v20, 8, v5
	;; [unrolled: 1-line block ×3, first 2 shown]
	v_cndmask_b32_e32 v15, v15, v2, vcc_lo
	v_cvt_f64_f32_e32 v[2:3], v13
	v_cmp_ne_u32_e32 vcc_lo, 0, v4
	v_and_b32_e32 v13, 7, v19
	v_and_or_b32 v15, 0x8000, v17, v15
	v_and_b32_e32 v17, 0xffff, v18
	v_cndmask_b32_e64 v4, 0, 1, vcc_lo
	v_cmp_lt_i32_e32 vcc_lo, 5, v13
	v_cmp_eq_u32_e64 s0, 3, v13
	v_sub_nc_u32_e32 v18, 0x3f1, v21
	v_lshl_or_b32 v13, v15, 16, v17
	v_lshrrev_b32_e32 v15, 2, v19
	v_and_or_b32 v4, 0xffe, v20, v4
	s_or_b32 vcc_lo, s0, vcc_lo
	v_med3_i32 v18, v18, 0, 13
	v_add_co_ci_u32_e32 v15, vcc_lo, 0, v15, vcc_lo
	v_or_b32_e32 v17, 0x1000, v4
	v_cmp_ne_u32_e32 vcc_lo, 0, v8
	v_and_or_b32 v10, 0x1ff, v11, v10
	v_lshrrev_b32_e32 v20, 8, v11
	v_mul_f64 v[2:3], v[2:3], s[6:7]
	v_lshrrev_b32_e32 v19, v18, v17
	v_cndmask_b32_e64 v8, 0, 1, vcc_lo
	v_cmp_gt_i32_e32 vcc_lo, 31, v14
	v_bfe_u32 v22, v11, 20, 11
	v_lshrrev_b32_e32 v11, 16, v11
	v_lshlrev_b32_e32 v18, v18, v19
	v_lshl_or_b32 v8, v8, 9, 0x7c00
	v_cndmask_b32_e32 v15, 0x7c00, v15, vcc_lo
	v_cmp_ne_u32_e32 vcc_lo, 0, v10
	v_cndmask_b32_e64 v10, 0, 1, vcc_lo
	v_cmp_ne_u32_e32 vcc_lo, v18, v17
	v_add_nc_u32_e32 v18, 0xfffffc10, v21
	v_and_or_b32 v10, 0xffe, v20, v10
	v_cndmask_b32_e64 v17, 0, 1, vcc_lo
	v_sub_nc_u32_e32 v20, 0x3f1, v22
	v_cmp_eq_u32_e32 vcc_lo, 0x40f, v14
	v_and_or_b32 v2, 0x1ff, v3, v2
	v_bfe_u32 v21, v3, 20, 11
	v_or_b32_e32 v14, v19, v17
	v_or_b32_e32 v17, 0x1000, v10
	v_cndmask_b32_e32 v8, v15, v8, vcc_lo
	v_lshl_or_b32 v15, v18, 12, v4
	v_med3_i32 v19, v20, 0, 13
	v_cmp_gt_i32_e32 vcc_lo, 1, v18
	v_lshrrev_b32_e32 v20, 8, v3
	v_and_or_b32 v8, 0x8000, v9, v8
	v_sub_nc_u32_e32 v9, 0x3f1, v21
	v_cndmask_b32_e32 v14, v15, v14, vcc_lo
	v_lshrrev_b32_e32 v15, v19, v17
	v_cmp_ne_u32_e32 vcc_lo, 0, v2
	v_med3_i32 v9, v9, 0, 13
	v_and_b32_e32 v23, 7, v14
	v_lshlrev_b32_e32 v19, v19, v15
	v_cndmask_b32_e64 v2, 0, 1, vcc_lo
	v_lshrrev_b32_e32 v14, 2, v14
	v_cmp_lt_i32_e32 vcc_lo, 5, v23
	v_cmp_ne_u32_e64 s0, v19, v17
	v_and_or_b32 v2, 0xffe, v20, v2
	v_add_nc_u32_e32 v20, 0xfffffc10, v22
	v_cndmask_b32_e64 v17, 0, 1, s0
	v_cmp_eq_u32_e64 s0, 3, v23
	v_or_b32_e32 v19, 0x1000, v2
	v_lshl_or_b32 v22, v20, 12, v10
	v_or_b32_e32 v15, v15, v17
	s_or_b32 vcc_lo, s0, vcc_lo
	v_lshrrev_b32_e32 v17, v9, v19
	v_add_co_ci_u32_e32 v14, vcc_lo, 0, v14, vcc_lo
	v_cmp_gt_i32_e32 vcc_lo, 1, v20
	v_lshlrev_b32_e32 v9, v9, v17
	v_cndmask_b32_e32 v15, v22, v15, vcc_lo
	v_cmp_ne_u32_e32 vcc_lo, 0, v4
	v_cndmask_b32_e64 v4, 0, 1, vcc_lo
	v_cmp_ne_u32_e32 vcc_lo, v9, v19
	v_add_nc_u32_e32 v19, 0xfffffc10, v21
	v_and_b32_e32 v21, 7, v15
	v_lshl_or_b32 v4, v4, 9, 0x7c00
	v_cndmask_b32_e64 v9, 0, 1, vcc_lo
	v_cmp_gt_i32_e32 vcc_lo, 31, v18
	v_cmp_gt_i32_e64 s1, 1, v19
	v_cmp_eq_u32_e64 s0, 3, v21
	v_or_b32_e32 v9, v17, v9
	v_lshl_or_b32 v17, v19, 12, v2
	v_cndmask_b32_e32 v14, 0x7c00, v14, vcc_lo
	v_cmp_lt_i32_e32 vcc_lo, 5, v21
	v_cndmask_b32_e64 v9, v17, v9, s1
	v_cmp_eq_u32_e64 s1, 0x40f, v18
	s_or_b32 vcc_lo, s0, vcc_lo
	v_cndmask_b32_e64 v4, v14, v4, s1
	v_lshrrev_b32_e32 v14, 2, v15
	v_and_b32_e32 v15, 7, v9
	v_lshrrev_b32_e32 v9, 2, v9
	v_cmp_gt_i32_e64 s1, 31, v20
	v_and_or_b32 v4, 0x8000, v5, v4
	v_add_co_ci_u32_e32 v14, vcc_lo, 0, v14, vcc_lo
	v_cmp_ne_u32_e32 vcc_lo, 0, v10
	v_cmp_eq_u32_e64 s0, 3, v15
	v_and_b32_e32 v5, 0xffff, v8
	v_cndmask_b32_e64 v14, 0x7c00, v14, s1
	v_cndmask_b32_e64 v10, 0, 1, vcc_lo
	v_cmp_lt_i32_e32 vcc_lo, 5, v15
	v_lshl_or_b32 v10, v10, 9, 0x7c00
	s_or_b32 vcc_lo, s0, vcc_lo
	v_add_co_ci_u32_e32 v9, vcc_lo, 0, v9, vcc_lo
	v_cmp_ne_u32_e32 vcc_lo, 0, v2
	v_cndmask_b32_e64 v2, 0, 1, vcc_lo
	v_cmp_eq_u32_e32 vcc_lo, 0x40f, v20
	v_lshl_or_b32 v2, v2, 9, 0x7c00
	v_cndmask_b32_e32 v10, v14, v10, vcc_lo
	v_cmp_gt_i32_e32 vcc_lo, 31, v19
	v_and_or_b32 v8, 0x8000, v11, v10
	v_cndmask_b32_e32 v9, 0x7c00, v9, vcc_lo
	v_cmp_eq_u32_e32 vcc_lo, 0x40f, v19
	v_lshrrev_b32_e32 v10, 16, v3
	v_lshl_or_b32 v11, v4, 16, v5
	v_and_b32_e32 v8, 0xffff, v8
	v_cndmask_b32_e32 v9, v9, v2, vcc_lo
	v_add_co_u32 v2, vcc_lo, v0, s3
	v_add_co_ci_u32_e32 v3, vcc_lo, s2, v1, vcc_lo
	v_and_or_b32 v9, 0x8000, v10, v9
	v_add_co_u32 v4, vcc_lo, v2, s3
	v_add_co_ci_u32_e32 v5, vcc_lo, s2, v3, vcc_lo
	v_lshl_or_b32 v10, v9, 16, v8
	v_add_co_u32 v8, vcc_lo, v4, s3
	v_add_co_ci_u32_e32 v9, vcc_lo, s2, v5, vcc_lo
	global_store_dword v[6:7], v16, off
	global_store_dword v[0:1], v12, off
	global_store_dword v[2:3], v13, off
	global_store_dword v[4:5], v11, off
	global_store_dword v[8:9], v10, off
.LBB0_10:
	s_endpgm
	.section	.rodata,"a",@progbits
	.p2align	6, 0x0
	.amdhsa_kernel bluestein_single_fwd_len1734_dim1_half_op_CI_CI
		.amdhsa_group_segment_fixed_size 6936
		.amdhsa_private_segment_fixed_size 0
		.amdhsa_kernarg_size 104
		.amdhsa_user_sgpr_count 6
		.amdhsa_user_sgpr_private_segment_buffer 1
		.amdhsa_user_sgpr_dispatch_ptr 0
		.amdhsa_user_sgpr_queue_ptr 0
		.amdhsa_user_sgpr_kernarg_segment_ptr 1
		.amdhsa_user_sgpr_dispatch_id 0
		.amdhsa_user_sgpr_flat_scratch_init 0
		.amdhsa_user_sgpr_private_segment_size 0
		.amdhsa_wavefront_size32 1
		.amdhsa_uses_dynamic_stack 0
		.amdhsa_system_sgpr_private_segment_wavefront_offset 0
		.amdhsa_system_sgpr_workgroup_id_x 1
		.amdhsa_system_sgpr_workgroup_id_y 0
		.amdhsa_system_sgpr_workgroup_id_z 0
		.amdhsa_system_sgpr_workgroup_info 0
		.amdhsa_system_vgpr_workitem_id 0
		.amdhsa_next_free_vgpr 204
		.amdhsa_next_free_sgpr 20
		.amdhsa_reserve_vcc 1
		.amdhsa_reserve_flat_scratch 0
		.amdhsa_float_round_mode_32 0
		.amdhsa_float_round_mode_16_64 0
		.amdhsa_float_denorm_mode_32 3
		.amdhsa_float_denorm_mode_16_64 3
		.amdhsa_dx10_clamp 1
		.amdhsa_ieee_mode 1
		.amdhsa_fp16_overflow 0
		.amdhsa_workgroup_processor_mode 1
		.amdhsa_memory_ordered 1
		.amdhsa_forward_progress 0
		.amdhsa_shared_vgpr_count 0
		.amdhsa_exception_fp_ieee_invalid_op 0
		.amdhsa_exception_fp_denorm_src 0
		.amdhsa_exception_fp_ieee_div_zero 0
		.amdhsa_exception_fp_ieee_overflow 0
		.amdhsa_exception_fp_ieee_underflow 0
		.amdhsa_exception_fp_ieee_inexact 0
		.amdhsa_exception_int_div_zero 0
	.end_amdhsa_kernel
	.text
.Lfunc_end0:
	.size	bluestein_single_fwd_len1734_dim1_half_op_CI_CI, .Lfunc_end0-bluestein_single_fwd_len1734_dim1_half_op_CI_CI
                                        ; -- End function
	.section	.AMDGPU.csdata,"",@progbits
; Kernel info:
; codeLenInByte = 37808
; NumSgprs: 22
; NumVgprs: 204
; ScratchSize: 0
; MemoryBound: 0
; FloatMode: 240
; IeeeMode: 1
; LDSByteSize: 6936 bytes/workgroup (compile time only)
; SGPRBlocks: 2
; VGPRBlocks: 25
; NumSGPRsForWavesPerEU: 22
; NumVGPRsForWavesPerEU: 204
; Occupancy: 4
; WaveLimiterHint : 1
; COMPUTE_PGM_RSRC2:SCRATCH_EN: 0
; COMPUTE_PGM_RSRC2:USER_SGPR: 6
; COMPUTE_PGM_RSRC2:TRAP_HANDLER: 0
; COMPUTE_PGM_RSRC2:TGID_X_EN: 1
; COMPUTE_PGM_RSRC2:TGID_Y_EN: 0
; COMPUTE_PGM_RSRC2:TGID_Z_EN: 0
; COMPUTE_PGM_RSRC2:TIDIG_COMP_CNT: 0
	.text
	.p2alignl 6, 3214868480
	.fill 48, 4, 3214868480
	.type	__hip_cuid_a21bcd09e97dc625,@object ; @__hip_cuid_a21bcd09e97dc625
	.section	.bss,"aw",@nobits
	.globl	__hip_cuid_a21bcd09e97dc625
__hip_cuid_a21bcd09e97dc625:
	.byte	0                               ; 0x0
	.size	__hip_cuid_a21bcd09e97dc625, 1

	.ident	"AMD clang version 19.0.0git (https://github.com/RadeonOpenCompute/llvm-project roc-6.4.0 25133 c7fe45cf4b819c5991fe208aaa96edf142730f1d)"
	.section	".note.GNU-stack","",@progbits
	.addrsig
	.addrsig_sym __hip_cuid_a21bcd09e97dc625
	.amdgpu_metadata
---
amdhsa.kernels:
  - .args:
      - .actual_access:  read_only
        .address_space:  global
        .offset:         0
        .size:           8
        .value_kind:     global_buffer
      - .actual_access:  read_only
        .address_space:  global
        .offset:         8
        .size:           8
        .value_kind:     global_buffer
      - .actual_access:  read_only
        .address_space:  global
        .offset:         16
        .size:           8
        .value_kind:     global_buffer
      - .actual_access:  read_only
        .address_space:  global
        .offset:         24
        .size:           8
        .value_kind:     global_buffer
      - .actual_access:  read_only
        .address_space:  global
        .offset:         32
        .size:           8
        .value_kind:     global_buffer
      - .offset:         40
        .size:           8
        .value_kind:     by_value
      - .address_space:  global
        .offset:         48
        .size:           8
        .value_kind:     global_buffer
      - .address_space:  global
        .offset:         56
        .size:           8
        .value_kind:     global_buffer
      - .address_space:  global
        .offset:         64
        .size:           8
        .value_kind:     global_buffer
      - .address_space:  global
        .offset:         72
        .size:           8
        .value_kind:     global_buffer
      - .offset:         80
        .size:           4
        .value_kind:     by_value
      - .address_space:  global
        .offset:         88
        .size:           8
        .value_kind:     global_buffer
      - .address_space:  global
        .offset:         96
        .size:           8
        .value_kind:     global_buffer
    .group_segment_fixed_size: 6936
    .kernarg_segment_align: 8
    .kernarg_segment_size: 104
    .language:       OpenCL C
    .language_version:
      - 2
      - 0
    .max_flat_workgroup_size: 102
    .name:           bluestein_single_fwd_len1734_dim1_half_op_CI_CI
    .private_segment_fixed_size: 0
    .sgpr_count:     22
    .sgpr_spill_count: 0
    .symbol:         bluestein_single_fwd_len1734_dim1_half_op_CI_CI.kd
    .uniform_work_group_size: 1
    .uses_dynamic_stack: false
    .vgpr_count:     204
    .vgpr_spill_count: 0
    .wavefront_size: 32
    .workgroup_processor_mode: 1
amdhsa.target:   amdgcn-amd-amdhsa--gfx1030
amdhsa.version:
  - 1
  - 2
...

	.end_amdgpu_metadata
